;; amdgpu-corpus repo=ROCm/rocFFT kind=compiled arch=gfx1030 opt=O3
	.text
	.amdgcn_target "amdgcn-amd-amdhsa--gfx1030"
	.amdhsa_code_object_version 6
	.protected	bluestein_single_back_len1183_dim1_dp_op_CI_CI ; -- Begin function bluestein_single_back_len1183_dim1_dp_op_CI_CI
	.globl	bluestein_single_back_len1183_dim1_dp_op_CI_CI
	.p2align	8
	.type	bluestein_single_back_len1183_dim1_dp_op_CI_CI,@function
bluestein_single_back_len1183_dim1_dp_op_CI_CI: ; @bluestein_single_back_len1183_dim1_dp_op_CI_CI
; %bb.0:
	s_load_dwordx4 s[12:15], s[4:5], 0x28
	v_mul_u32_u24_e32 v1, 0x2d1, v0
	v_mov_b32_e32 v191, 0
	s_mov_b32 s0, exec_lo
	v_lshrrev_b32_e32 v30, 16, v1
	v_lshl_add_u32 v190, s6, 1, v30
	s_waitcnt lgkmcnt(0)
	v_cmpx_gt_u64_e64 s[12:13], v[190:191]
	s_cbranch_execz .LBB0_15
; %bb.1:
	s_clause 0x1
	s_load_dwordx4 s[8:11], s[4:5], 0x18
	s_load_dwordx2 s[6:7], s[4:5], 0x0
	v_mul_lo_u16 v1, 0x5b, v30
	v_and_b32_e32 v30, 1, v30
	v_sub_nc_u16 v87, v0, v1
	v_and_b32_e32 v200, 0xffff, v87
	v_lshlrev_b32_e32 v88, 4, v200
	s_waitcnt lgkmcnt(0)
	s_load_dwordx4 s[0:3], s[8:9], 0x0
	v_add_co_u32 v180, s8, s6, v88
	v_add_co_ci_u32_e64 v181, null, s7, 0, s8
	global_load_dwordx4 v[16:19], v88, s[6:7]
	v_add_co_u32 v2, vcc_lo, 0x800, v180
	v_add_co_ci_u32_e32 v3, vcc_lo, 0, v181, vcc_lo
	v_add_co_u32 v182, vcc_lo, 0x1000, v180
	v_add_co_ci_u32_e32 v183, vcc_lo, 0, v181, vcc_lo
	;; [unrolled: 2-line block ×3, first 2 shown]
	v_add_co_u32 v186, vcc_lo, 0x2800, v180
	s_waitcnt lgkmcnt(0)
	v_mad_u64_u32 v[0:1], null, s2, v190, 0
	v_mad_u64_u32 v[4:5], null, s0, v200, 0
	v_add_co_ci_u32_e32 v187, vcc_lo, 0, v181, vcc_lo
	v_add_co_u32 v51, vcc_lo, 0x3000, v180
	v_mad_u64_u32 v[6:7], null, s3, v190, v[1:2]
	v_add_co_ci_u32_e32 v52, vcc_lo, 0, v181, vcc_lo
	v_add_co_u32 v184, vcc_lo, 0x3800, v180
	v_add_co_ci_u32_e32 v185, vcc_lo, 0, v181, vcc_lo
	v_mad_u64_u32 v[7:8], null, s1, v200, v[5:6]
	v_mov_b32_e32 v1, v6
	s_clause 0x1
	global_load_dwordx4 v[24:27], v[2:3], off offset:656
	global_load_dwordx4 v[20:23], v[182:183], off offset:1312
	s_mul_i32 s3, s1, 0xa9
	s_mul_hi_u32 s6, s0, 0xa9
	v_lshlrev_b64 v[0:1], 4, v[0:1]
	v_mov_b32_e32 v5, v7
	s_mul_i32 s2, s0, 0xa9
	s_add_i32 s3, s6, s3
	s_clause 0x1
	global_load_dwordx4 v[12:15], v[188:189], off offset:1968
	global_load_dwordx4 v[8:11], v[186:187], off offset:576
	s_lshl_b64 s[6:7], s[2:3], 4
	v_lshlrev_b64 v[2:3], 4, v[4:5]
	v_add_co_u32 v0, vcc_lo, s14, v0
	v_add_co_ci_u32_e32 v1, vcc_lo, s15, v1, vcc_lo
	v_add_co_u32 v0, vcc_lo, v0, v2
	v_add_co_ci_u32_e32 v1, vcc_lo, v1, v3, vcc_lo
	;; [unrolled: 2-line block ×3, first 2 shown]
	global_load_dwordx4 v[31:34], v[0:1], off
	v_add_co_u32 v4, vcc_lo, v2, s6
	global_load_dwordx4 v[35:38], v[2:3], off
	v_add_co_ci_u32_e32 v5, vcc_lo, s7, v3, vcc_lo
	v_add_co_u32 v6, vcc_lo, v4, s6
	v_add_co_ci_u32_e32 v7, vcc_lo, s7, v5, vcc_lo
	v_add_co_u32 v0, vcc_lo, v6, s6
	s_clause 0x1
	global_load_dwordx4 v[39:42], v[4:5], off
	global_load_dwordx4 v[43:46], v[6:7], off
	v_add_co_ci_u32_e32 v1, vcc_lo, s7, v7, vcc_lo
	v_add_co_u32 v2, vcc_lo, v0, s6
	v_add_co_ci_u32_e32 v3, vcc_lo, s7, v1, vcc_lo
	v_add_co_u32 v28, vcc_lo, v2, s6
	v_add_co_ci_u32_e32 v29, vcc_lo, s7, v3, vcc_lo
	global_load_dwordx4 v[47:50], v[0:1], off
	global_load_dwordx4 v[4:7], v[51:52], off offset:1232
	global_load_dwordx4 v[51:54], v[2:3], off
	global_load_dwordx4 v[0:3], v[184:185], off offset:1888
	global_load_dwordx4 v[55:58], v[28:29], off
	v_cmp_eq_u32_e32 vcc_lo, 1, v30
	s_load_dwordx2 s[2:3], s[4:5], 0x38
	s_load_dwordx4 s[8:11], s[10:11], 0x0
	v_cndmask_b32_e64 v89, 0, 0x49f, vcc_lo
	v_cmp_gt_u16_e32 vcc_lo, 0x4e, v87
	v_lshlrev_b32_e32 v201, 4, v89
	v_add_nc_u32_e32 v199, v201, v88
	s_waitcnt vmcnt(8)
	v_mul_f64 v[59:60], v[33:34], v[18:19]
	v_mul_f64 v[61:62], v[31:32], v[18:19]
	s_waitcnt vmcnt(7)
	v_mul_f64 v[63:64], v[37:38], v[26:27]
	v_mul_f64 v[65:66], v[35:36], v[26:27]
	;; [unrolled: 3-line block ×7, first 2 shown]
	v_fma_f64 v[30:31], v[31:32], v[16:17], v[59:60]
	v_fma_f64 v[32:33], v[33:34], v[16:17], -v[61:62]
	v_fma_f64 v[34:35], v[35:36], v[24:25], v[63:64]
	v_fma_f64 v[36:37], v[37:38], v[24:25], -v[65:66]
	;; [unrolled: 2-line block ×4, first 2 shown]
	ds_write_b128 v199, v[30:33]
	ds_write_b128 v199, v[34:37] offset:2704
	ds_write_b128 v199, v[38:41] offset:5408
	v_fma_f64 v[46:47], v[47:48], v[8:9], v[75:76]
	v_fma_f64 v[48:49], v[49:50], v[8:9], -v[77:78]
	v_fma_f64 v[50:51], v[51:52], v[4:5], v[79:80]
	v_fma_f64 v[52:53], v[53:54], v[4:5], -v[81:82]
	;; [unrolled: 2-line block ×3, first 2 shown]
	ds_write_b128 v199, v[42:45] offset:8112
	ds_write_b128 v199, v[46:49] offset:10816
	;; [unrolled: 1-line block ×4, first 2 shown]
	s_and_saveexec_b32 s12, vcc_lo
	s_cbranch_execz .LBB0_3
; %bb.2:
	v_mad_u64_u32 v[44:45], null, 0xffffc650, s0, v[28:29]
	s_mulk_i32 s1, 0xc650
	global_load_dwordx4 v[28:31], v[180:181], off offset:1456
	s_sub_i32 s0, s1, s0
	s_clause 0x1
	global_load_dwordx4 v[32:35], v[182:183], off offset:64
	global_load_dwordx4 v[36:39], v[188:189], off offset:720
	v_add_nc_u32_e32 v45, s0, v45
	v_add_co_u32 v48, s0, v44, s6
	v_add_co_ci_u32_e64 v49, s0, s7, v45, s0
	v_add_co_u32 v52, s0, v48, s6
	v_add_co_ci_u32_e64 v53, s0, s7, v49, s0
	;; [unrolled: 2-line block ×4, first 2 shown]
	global_load_dwordx4 v[40:43], v[40:41], off offset:1376
	v_add_co_u32 v64, s0, v56, s6
	v_add_co_ci_u32_e64 v65, s0, s7, v57, s0
	global_load_dwordx4 v[44:47], v[44:45], off
	global_load_dwordx4 v[48:51], v[48:49], off
	;; [unrolled: 1-line block ×5, first 2 shown]
	v_add_co_u32 v68, s0, v64, s6
	v_add_co_ci_u32_e64 v69, s0, s7, v65, s0
	v_add_co_u32 v76, s0, 0x4000, v180
	v_add_co_ci_u32_e64 v77, s0, 0, v181, s0
	;; [unrolled: 2-line block ×3, first 2 shown]
	global_load_dwordx4 v[64:67], v[186:187], off offset:2032
	global_load_dwordx4 v[68:71], v[68:69], off
	s_clause 0x1
	global_load_dwordx4 v[72:75], v[184:185], off offset:640
	global_load_dwordx4 v[76:79], v[76:77], off offset:1296
	global_load_dwordx4 v[80:83], v[80:81], off
	s_waitcnt vmcnt(9)
	v_mul_f64 v[84:85], v[46:47], v[30:31]
	v_mul_f64 v[30:31], v[44:45], v[30:31]
	s_waitcnt vmcnt(8)
	v_mul_f64 v[86:87], v[50:51], v[34:35]
	v_mul_f64 v[34:35], v[48:49], v[34:35]
	;; [unrolled: 3-line block ×7, first 2 shown]
	v_fma_f64 v[42:43], v[44:45], v[28:29], v[84:85]
	v_fma_f64 v[44:45], v[46:47], v[28:29], -v[30:31]
	v_fma_f64 v[28:29], v[48:49], v[32:33], v[86:87]
	v_fma_f64 v[30:31], v[50:51], v[32:33], -v[34:35]
	;; [unrolled: 2-line block ×7, first 2 shown]
	ds_write_b128 v199, v[42:45] offset:1456
	ds_write_b128 v199, v[28:31] offset:4160
	;; [unrolled: 1-line block ×7, first 2 shown]
.LBB0_3:
	s_or_b32 exec_lo, exec_lo, s12
	s_waitcnt lgkmcnt(0)
	s_barrier
	buffer_gl0_inv
	ds_read_b128 v[32:35], v199
	ds_read_b128 v[72:75], v199 offset:2704
	ds_read_b128 v[68:71], v199 offset:5408
	;; [unrolled: 1-line block ×6, first 2 shown]
	s_load_dwordx2 s[30:31], s[4:5], 0x8
                                        ; implicit-def: $vgpr28_vgpr29
                                        ; implicit-def: $vgpr36_vgpr37
                                        ; implicit-def: $vgpr40_vgpr41
                                        ; implicit-def: $vgpr44_vgpr45
                                        ; implicit-def: $vgpr48_vgpr49
                                        ; implicit-def: $vgpr52_vgpr53
                                        ; implicit-def: $vgpr56_vgpr57
	s_and_saveexec_b32 s0, vcc_lo
	s_cbranch_execz .LBB0_5
; %bb.4:
	ds_read_b128 v[28:31], v199 offset:1456
	ds_read_b128 v[36:39], v199 offset:4160
	;; [unrolled: 1-line block ×7, first 2 shown]
.LBB0_5:
	s_or_b32 exec_lo, exec_lo, s0
	s_waitcnt lgkmcnt(0)
	v_add_f64 v[84:85], v[72:73], v[80:81]
	v_add_f64 v[86:87], v[68:69], v[76:77]
	;; [unrolled: 1-line block ×3, first 2 shown]
	v_add_f64 v[80:81], v[72:73], -v[80:81]
	v_add_f64 v[82:83], v[74:75], -v[82:83]
	v_add_f64 v[72:73], v[70:71], v[78:79]
	v_add_f64 v[68:69], v[68:69], -v[76:77]
	v_add_f64 v[70:71], v[70:71], -v[78:79]
	v_add_f64 v[74:75], v[60:61], v[64:65]
	v_add_f64 v[76:77], v[62:63], v[66:67]
	v_add_f64 v[78:79], v[64:65], -v[60:61]
	v_add_f64 v[90:91], v[66:67], -v[62:63]
	v_add_f64 v[60:61], v[36:37], v[56:57]
	v_add_f64 v[64:65], v[38:39], v[58:59]
	;; [unrolled: 1-line block ×4, first 2 shown]
	v_add_f64 v[56:57], v[36:37], -v[56:57]
	v_add_f64 v[36:37], v[38:39], -v[58:59]
	;; [unrolled: 1-line block ×4, first 2 shown]
	v_add_f64 v[42:43], v[44:45], v[48:49]
	v_add_f64 v[52:53], v[46:47], v[50:51]
	v_add_f64 v[44:45], v[48:49], -v[44:45]
	v_add_f64 v[92:93], v[86:87], v[84:85]
	v_add_f64 v[46:47], v[50:51], -v[46:47]
	s_mov_b32 s16, 0x37e14327
	s_mov_b32 s17, 0x3fe948f6
	v_add_f64 v[94:95], v[72:73], v[88:89]
	v_add_f64 v[96:97], v[86:87], -v[84:85]
	s_mov_b32 s0, 0x36b3c0b5
	v_add_f64 v[48:49], v[84:85], -v[74:75]
	v_add_f64 v[50:51], v[88:89], -v[76:77]
	;; [unrolled: 1-line block ×3, first 2 shown]
	v_add_f64 v[100:101], v[90:91], v[70:71]
	v_add_f64 v[102:103], v[90:91], -v[70:71]
	v_add_f64 v[70:71], v[70:71], -v[82:83]
	v_add_f64 v[54:55], v[62:63], v[60:61]
	v_add_f64 v[58:59], v[66:67], v[64:65]
	;; [unrolled: 1-line block ×3, first 2 shown]
	v_add_f64 v[68:69], v[68:69], -v[80:81]
	s_mov_b32 s4, 0xe976ee23
	s_mov_b32 s6, 0x429ad128
	v_add_f64 v[108:109], v[60:61], -v[42:43]
	s_mov_b32 s18, 0xaaaaaaaa
	v_add_f64 v[114:115], v[56:57], -v[44:45]
	v_add_f64 v[92:93], v[74:75], v[92:93]
	v_add_f64 v[74:75], v[74:75], -v[86:87]
	v_add_f64 v[116:117], v[36:37], -v[46:47]
	s_mov_b32 s20, 0xb247c609
	v_add_f64 v[94:95], v[76:77], v[94:95]
	v_add_f64 v[76:77], v[76:77], -v[72:73]
	s_mov_b32 s1, 0x3fac98ee
	v_mul_f64 v[110:111], v[48:49], s[16:17]
	s_mov_b32 s5, 0xbfe11646
	s_mov_b32 s7, 0x3febfeb5
	;; [unrolled: 1-line block ×4, first 2 shown]
	v_add_f64 v[88:89], v[72:73], -v[88:89]
	v_add_f64 v[54:55], v[42:43], v[54:55]
	v_add_f64 v[112:113], v[52:53], v[58:59]
	v_add_f64 v[58:59], v[64:65], -v[52:53]
	v_add_f64 v[106:107], v[80:81], -v[78:79]
	;; [unrolled: 1-line block ×3, first 2 shown]
	v_mul_f64 v[50:51], v[50:51], s[16:17]
	v_add_f64 v[72:73], v[52:53], -v[66:67]
	v_add_f64 v[52:53], v[44:45], v[40:41]
	v_add_f64 v[122:123], v[46:47], v[38:39]
	;; [unrolled: 1-line block ×3, first 2 shown]
	v_mul_f64 v[118:119], v[74:75], s[0:1]
	v_mul_f64 v[102:103], v[102:103], s[4:5]
	;; [unrolled: 1-line block ×3, first 2 shown]
	v_add_f64 v[86:87], v[34:35], v[94:95]
	v_mul_f64 v[120:121], v[76:77], s[0:1]
	v_add_f64 v[34:35], v[42:43], -v[62:63]
	v_mul_f64 v[124:125], v[70:71], s[6:7]
	v_add_f64 v[78:79], v[44:45], -v[40:41]
	v_add_f64 v[48:49], v[46:47], -v[38:39]
	v_mul_f64 v[32:33], v[108:109], s[16:17]
	v_fma_f64 v[46:47], v[74:75], s[0:1], v[110:111]
	v_mul_f64 v[74:75], v[114:115], s[20:21]
	v_add_f64 v[28:29], v[28:29], v[54:55]
	v_add_f64 v[30:31], v[30:31], v[112:113]
	v_mul_f64 v[58:59], v[58:59], s[16:17]
	v_mul_f64 v[42:43], v[116:117], s[20:21]
	;; [unrolled: 1-line block ×3, first 2 shown]
	s_mov_b32 s12, 0x5476071b
	s_mov_b32 s13, 0x3fe77f67
	;; [unrolled: 1-line block ×4, first 2 shown]
	v_fma_f64 v[92:93], v[92:93], s[18:19], v[84:85]
	s_mov_b32 s14, s12
	s_mov_b32 s22, s20
	v_fma_f64 v[76:77], v[76:77], s[0:1], v[50:51]
	v_fma_f64 v[94:95], v[94:95], s[18:19], v[86:87]
	v_fma_f64 v[108:109], v[96:97], s[12:13], -v[118:119]
	v_fma_f64 v[114:115], v[88:89], s[12:13], -v[120:121]
	;; [unrolled: 1-line block ×3, first 2 shown]
	v_add_f64 v[98:99], v[98:99], v[80:81]
	v_add_f64 v[100:101], v[100:101], v[82:83]
	v_fma_f64 v[50:51], v[88:89], s[14:15], -v[50:51]
	v_fma_f64 v[88:89], v[90:91], s[20:21], v[102:103]
	v_fma_f64 v[110:111], v[106:107], s[20:21], v[104:105]
	v_fma_f64 v[90:91], v[90:91], s[22:23], -v[124:125]
	v_fma_f64 v[70:71], v[70:71], s[6:7], -v[102:103]
	;; [unrolled: 1-line block ×3, first 2 shown]
	v_add_f64 v[82:83], v[52:53], v[56:57]
	v_add_f64 v[80:81], v[122:123], v[36:37]
	v_fma_f64 v[44:45], v[54:55], s[18:19], v[28:29]
	v_fma_f64 v[68:69], v[112:113], s[18:19], v[30:31]
	;; [unrolled: 1-line block ×4, first 2 shown]
	v_add_f64 v[52:53], v[46:47], v[92:93]
	v_fma_f64 v[46:47], v[34:35], s[0:1], v[32:33]
	v_fma_f64 v[112:113], v[72:73], s[0:1], v[58:59]
	v_fma_f64 v[106:107], v[106:107], s[22:23], -v[126:127]
	s_mov_b32 s16, 0x37c3f68c
	s_mov_b32 s17, 0x3fdc38aa
	v_add_f64 v[116:117], v[76:77], v[94:95]
	v_add_f64 v[108:109], v[108:109], v[92:93]
	;; [unrolled: 1-line block ×5, first 2 shown]
	v_fma_f64 v[122:123], v[100:101], s[16:17], v[88:89]
	v_fma_f64 v[110:111], v[98:99], s[16:17], v[110:111]
	;; [unrolled: 1-line block ×5, first 2 shown]
	s_barrier
	buffer_gl0_inv
	v_fma_f64 v[70:71], v[82:83], s[16:17], v[54:55]
	v_fma_f64 v[50:51], v[80:81], s[16:17], v[104:105]
	v_add_f64 v[46:47], v[46:47], v[44:45]
	v_add_f64 v[76:77], v[112:113], v[68:69]
	v_fma_f64 v[106:107], v[98:99], s[16:17], v[106:107]
	v_mul_lo_u16 v112, v200, 7
	v_and_b32_e32 v112, 0xffff, v112
	v_add_f64 v[88:89], v[52:53], v[122:123]
	v_add_f64 v[90:91], v[116:117], -v[110:111]
	v_add_f64 v[92:93], v[118:119], v[124:125]
	v_add_f64 v[96:97], v[108:109], -v[100:101]
	v_add_f64 v[98:99], v[102:103], v[114:115]
	v_add_f64 v[100:101], v[108:109], v[100:101]
	v_add_f64 v[108:109], v[52:53], -v[122:123]
	v_add_f64 v[102:103], v[114:115], -v[102:103]
	v_add_f64 v[104:105], v[118:119], -v[124:125]
	v_add_f64 v[110:111], v[110:111], v[116:117]
	v_lshl_add_u32 v203, v112, 4, v201
	v_add_co_u32 v112, null, 0x5b, v200
	v_add_f64 v[52:53], v[46:47], -v[50:51]
	v_add_f64 v[54:55], v[70:71], v[76:77]
	v_add_f64 v[94:95], v[120:121], -v[106:107]
	v_add_f64 v[106:107], v[106:107], v[120:121]
	v_mul_u32_u24_e32 v202, 7, v112
	ds_write_b128 v203, v[84:87]
	ds_write_b128 v203, v[88:91] offset:16
	ds_write_b128 v203, v[92:95] offset:32
	;; [unrolled: 1-line block ×6, first 2 shown]
	s_and_saveexec_b32 s18, vcc_lo
	s_cbranch_execz .LBB0_7
; %bb.6:
	v_add_f64 v[40:41], v[40:41], -v[56:57]
	v_add_f64 v[56:57], v[66:67], -v[64:65]
	;; [unrolled: 1-line block ×4, first 2 shown]
	v_mul_f64 v[64:65], v[72:73], s[0:1]
	v_mul_f64 v[66:67], v[78:79], s[4:5]
	;; [unrolled: 1-line block ×4, first 2 shown]
	s_mov_b32 s1, 0xbfebfeb5
	s_mov_b32 s0, s6
	v_mul_f64 v[48:49], v[82:83], s[16:17]
	v_mul_f64 v[62:63], v[80:81], s[16:17]
	v_fma_f64 v[72:73], v[40:41], s[0:1], -v[74:75]
	v_fma_f64 v[58:59], v[56:57], s[14:15], -v[58:59]
	v_fma_f64 v[32:33], v[60:61], s[14:15], -v[32:33]
	v_fma_f64 v[42:43], v[36:37], s[0:1], -v[42:43]
	v_fma_f64 v[56:57], v[56:57], s[12:13], -v[64:65]
	v_fma_f64 v[40:41], v[40:41], s[6:7], -v[66:67]
	v_fma_f64 v[34:35], v[60:61], s[12:13], -v[34:35]
	v_fma_f64 v[36:37], v[36:37], s[6:7], -v[38:39]
	v_add_f64 v[60:61], v[48:49], v[72:73]
	v_add_f64 v[58:59], v[58:59], v[68:69]
	;; [unrolled: 1-line block ×8, first 2 shown]
	v_add_f64 v[34:35], v[76:77], -v[70:71]
	v_add_f64 v[32:33], v[46:47], v[50:51]
	v_add_f64 v[50:51], v[58:59], -v[60:61]
	v_add_f64 v[38:39], v[60:61], v[58:59]
	v_add_f64 v[48:49], v[64:65], v[66:67]
	;; [unrolled: 1-line block ×3, first 2 shown]
	v_add_f64 v[42:43], v[56:57], -v[40:41]
	v_add_f64 v[44:45], v[68:69], -v[36:37]
	v_add_f64 v[40:41], v[68:69], v[36:37]
	v_add_f64 v[36:37], v[64:65], -v[66:67]
	v_lshl_add_u32 v56, v202, 4, v201
	ds_write_b128 v56, v[28:31]
	ds_write_b128 v56, v[32:35] offset:16
	ds_write_b128 v56, v[48:51] offset:32
	;; [unrolled: 1-line block ×6, first 2 shown]
.LBB0_7:
	s_or_b32 exec_lo, exec_lo, s18
	v_and_b32_e32 v28, 0xff, v200
	s_waitcnt lgkmcnt(0)
	s_barrier
	buffer_gl0_inv
	ds_read_b128 v[84:87], v199
	ds_read_b128 v[40:43], v199 offset:1456
	ds_read_b128 v[44:47], v199 offset:2912
	;; [unrolled: 1-line block ×12, first 2 shown]
	v_mul_lo_u16 v28, v28, 37
	s_mov_b32 s40, 0x4267c47c
	s_mov_b32 s26, 0x42a4c3d2
	;; [unrolled: 1-line block ×4, first 2 shown]
	v_lshrrev_b16 v28, 8, v28
	s_mov_b32 s20, 0x24c2f84
	s_mov_b32 s22, 0x4bc48dbf
	;; [unrolled: 1-line block ×4, first 2 shown]
	v_sub_nc_u16 v29, v200, v28
	s_mov_b32 s35, 0xbfefc445
	s_mov_b32 s7, 0xbfedeba7
	;; [unrolled: 1-line block ×4, first 2 shown]
	v_lshrrev_b16 v29, 1, v29
	s_mov_b32 s16, 0xe00740e9
	s_mov_b32 s12, 0x1ea71119
	;; [unrolled: 1-line block ×4, first 2 shown]
	v_and_b32_e32 v29, 0x7f, v29
	s_mov_b32 s18, 0xd0032e0c
	s_mov_b32 s24, 0x93053d00
	s_mov_b32 s17, 0x3fec55a7
	s_mov_b32 s13, 0x3fe22d96
	v_add_nc_u16 v28, v29, v28
	s_mov_b32 s1, 0x3fbedb7d
	s_mov_b32 s5, 0xbfd6b1d8
	;; [unrolled: 1-line block ×4, first 2 shown]
	v_lshrrev_b16 v140, 2, v28
	s_mov_b32 s39, 0x3fe5384d
	s_mov_b32 s38, s20
	;; [unrolled: 1-line block ×4, first 2 shown]
	v_mul_lo_u16 v28, v140, 7
	s_mov_b32 s29, 0x3fddbe06
	s_mov_b32 s28, s40
	;; [unrolled: 1-line block ×4, first 2 shown]
	v_sub_nc_u16 v141, v200, v28
	v_mov_b32_e32 v28, 12
	s_mov_b32 s43, 0x3fcea1e5
	s_mov_b32 s42, s22
	;; [unrolled: 1-line block ×4, first 2 shown]
	v_mul_u32_u24_sdwa v28, v141, v28 dst_sel:DWORD dst_unused:UNUSED_PAD src0_sel:BYTE_0 src1_sel:DWORD
	v_lshlrev_b32_e32 v108, 4, v28
	s_clause 0x3
	global_load_dwordx4 v[28:31], v108, s[30:31] offset:48
	global_load_dwordx4 v[32:35], v108, s[30:31] offset:32
	;; [unrolled: 1-line block ×3, first 2 shown]
	global_load_dwordx4 v[56:59], v108, s[30:31]
	s_waitcnt vmcnt(0) lgkmcnt(11)
	v_mul_f64 v[88:89], v[42:43], v[58:59]
	v_fma_f64 v[136:137], v[40:41], v[56:57], -v[88:89]
	v_mul_f64 v[40:41], v[40:41], v[58:59]
	v_fma_f64 v[138:139], v[42:43], v[56:57], v[40:41]
	s_waitcnt lgkmcnt(10)
	v_mul_f64 v[40:41], v[46:47], v[38:39]
	v_fma_f64 v[120:121], v[44:45], v[36:37], -v[40:41]
	v_mul_f64 v[40:41], v[44:45], v[38:39]
	v_fma_f64 v[118:119], v[46:47], v[36:37], v[40:41]
	s_waitcnt lgkmcnt(9)
	;; [unrolled: 5-line block ×3, first 2 shown]
	v_mul_f64 v[40:41], v[62:63], v[30:31]
	v_fma_f64 v[106:107], v[60:61], v[28:29], -v[40:41]
	v_mul_f64 v[40:41], v[60:61], v[30:31]
	v_fma_f64 v[102:103], v[62:63], v[28:29], v[40:41]
	s_clause 0x3
	global_load_dwordx4 v[40:43], v108, s[30:31] offset:112
	global_load_dwordx4 v[44:47], v108, s[30:31] offset:96
	;; [unrolled: 1-line block ×4, first 2 shown]
	s_waitcnt vmcnt(0) lgkmcnt(7)
	v_mul_f64 v[88:89], v[66:67], v[62:63]
	v_fma_f64 v[100:101], v[64:65], v[60:61], -v[88:89]
	v_mul_f64 v[64:65], v[64:65], v[62:63]
	v_fma_f64 v[96:97], v[66:67], v[60:61], v[64:65]
	s_waitcnt lgkmcnt(6)
	v_mul_f64 v[64:65], v[70:71], v[50:51]
	v_fma_f64 v[92:93], v[68:69], v[48:49], -v[64:65]
	v_mul_f64 v[64:65], v[68:69], v[50:51]
	v_fma_f64 v[88:89], v[70:71], v[48:49], v[64:65]
	s_waitcnt lgkmcnt(5)
	;; [unrolled: 5-line block ×3, first 2 shown]
	v_mul_f64 v[64:65], v[78:79], v[42:43]
	v_fma_f64 v[104:105], v[76:77], v[40:41], -v[64:65]
	v_mul_f64 v[64:65], v[76:77], v[42:43]
	v_fma_f64 v[98:99], v[78:79], v[40:41], v[64:65]
	s_clause 0x3
	global_load_dwordx4 v[64:67], v108, s[30:31] offset:176
	global_load_dwordx4 v[68:71], v108, s[30:31] offset:160
	;; [unrolled: 1-line block ×4, first 2 shown]
	s_waitcnt vmcnt(0) lgkmcnt(0)
	s_barrier
	buffer_gl0_inv
	v_mul_f64 v[108:109], v[82:83], v[78:79]
	v_fma_f64 v[112:113], v[80:81], v[76:77], -v[108:109]
	v_mul_f64 v[80:81], v[80:81], v[78:79]
	v_fma_f64 v[108:109], v[82:83], v[76:77], v[80:81]
	v_mul_f64 v[80:81], v[126:127], v[74:75]
	v_add_f64 v[82:83], v[86:87], v[138:139]
	v_fma_f64 v[122:123], v[124:125], v[72:73], -v[80:81]
	v_mul_f64 v[80:81], v[124:125], v[74:75]
	v_add_f64 v[82:83], v[82:83], v[118:119]
	v_fma_f64 v[114:115], v[126:127], v[72:73], v[80:81]
	v_mul_f64 v[80:81], v[130:131], v[70:71]
	v_add_f64 v[82:83], v[82:83], v[110:111]
	v_fma_f64 v[126:127], v[128:129], v[68:69], -v[80:81]
	v_mul_f64 v[80:81], v[128:129], v[70:71]
	v_add_f64 v[82:83], v[82:83], v[102:103]
	;; [unrolled: 6-line block ×3, first 2 shown]
	v_add_f64 v[132:133], v[136:137], v[128:129]
	v_fma_f64 v[130:131], v[134:135], v[64:65], v[80:81]
	v_add_f64 v[80:81], v[84:85], v[136:137]
	v_add_f64 v[82:83], v[82:83], v[90:91]
	;; [unrolled: 1-line block ×13, first 2 shown]
	v_add_f64 v[130:131], v[138:139], -v[130:131]
	v_add_f64 v[80:81], v[80:81], v[94:95]
	v_mul_f64 v[146:147], v[130:131], s[26:27]
	v_mul_f64 v[154:155], v[130:131], s[34:35]
	;; [unrolled: 1-line block ×4, first 2 shown]
	v_add_f64 v[80:81], v[80:81], v[104:105]
	v_fma_f64 v[148:149], v[132:133], s[12:13], -v[146:147]
	v_fma_f64 v[146:147], v[132:133], s[12:13], v[146:147]
	v_fma_f64 v[156:157], v[132:133], s[0:1], -v[154:155]
	v_fma_f64 v[154:155], v[132:133], s[0:1], v[154:155]
	;; [unrolled: 2-line block ×4, first 2 shown]
	v_add_f64 v[80:81], v[80:81], v[112:113]
	v_add_f64 v[148:149], v[84:85], v[148:149]
	v_add_f64 v[146:147], v[84:85], v[146:147]
	v_add_f64 v[156:157], v[84:85], v[156:157]
	v_add_f64 v[154:155], v[84:85], v[154:155]
	v_add_f64 v[164:165], v[84:85], v[164:165]
	v_add_f64 v[162:163], v[84:85], v[162:163]
	v_add_f64 v[172:173], v[84:85], v[172:173]
	v_add_f64 v[170:171], v[84:85], v[170:171]
	v_add_f64 v[80:81], v[80:81], v[122:123]
	v_add_f64 v[80:81], v[80:81], v[126:127]
	v_add_f64 v[80:81], v[80:81], v[128:129]
	v_add_f64 v[128:129], v[136:137], -v[128:129]
	v_mul_f64 v[136:137], v[130:131], s[40:41]
	v_mul_f64 v[130:131], v[130:131], s[22:23]
	;; [unrolled: 1-line block ×3, first 2 shown]
	v_fma_f64 v[138:139], v[132:133], s[16:17], -v[136:137]
	v_fma_f64 v[136:137], v[132:133], s[16:17], v[136:137]
	v_mul_f64 v[150:151], v[128:129], s[26:27]
	v_mul_f64 v[158:159], v[128:129], s[34:35]
	;; [unrolled: 1-line block ×4, first 2 shown]
	v_fma_f64 v[178:179], v[132:133], s[24:25], -v[130:131]
	v_mul_f64 v[128:129], v[128:129], s[22:23]
	v_fma_f64 v[130:131], v[132:133], s[24:25], v[130:131]
	v_fma_f64 v[144:145], v[134:135], s[16:17], v[142:143]
	v_add_f64 v[138:139], v[84:85], v[138:139]
	v_add_f64 v[136:137], v[84:85], v[136:137]
	v_fma_f64 v[142:143], v[134:135], s[16:17], -v[142:143]
	v_fma_f64 v[152:153], v[134:135], s[12:13], v[150:151]
	v_fma_f64 v[150:151], v[134:135], s[12:13], -v[150:151]
	v_fma_f64 v[160:161], v[134:135], s[0:1], v[158:159]
	;; [unrolled: 2-line block ×4, first 2 shown]
	v_fma_f64 v[174:175], v[134:135], s[18:19], -v[174:175]
	v_add_f64 v[178:179], v[84:85], v[178:179]
	v_fma_f64 v[191:192], v[134:135], s[24:25], v[128:129]
	v_add_f64 v[84:85], v[84:85], v[130:131]
	v_fma_f64 v[128:129], v[134:135], s[24:25], -v[128:129]
	v_add_f64 v[130:131], v[118:119], v[124:125]
	v_add_f64 v[118:119], v[118:119], -v[124:125]
	v_add_f64 v[144:145], v[86:87], v[144:145]
	v_add_f64 v[142:143], v[86:87], v[142:143]
	;; [unrolled: 1-line block ×13, first 2 shown]
	v_mul_f64 v[124:125], v[118:119], s[26:27]
	v_add_f64 v[120:121], v[120:121], -v[126:127]
	v_fma_f64 v[126:127], v[128:129], s[12:13], -v[124:125]
	v_fma_f64 v[124:125], v[128:129], s[12:13], v[124:125]
	v_mul_f64 v[132:133], v[120:121], s[26:27]
	v_add_f64 v[126:127], v[126:127], v[138:139]
	v_add_f64 v[124:125], v[124:125], v[136:137]
	v_mul_f64 v[136:137], v[118:119], s[6:7]
	v_fma_f64 v[134:135], v[130:131], s[12:13], v[132:133]
	v_fma_f64 v[132:133], v[130:131], s[12:13], -v[132:133]
	v_fma_f64 v[138:139], v[128:129], s[4:5], -v[136:137]
	v_fma_f64 v[136:137], v[128:129], s[4:5], v[136:137]
	v_add_f64 v[132:133], v[132:133], v[142:143]
	v_mul_f64 v[142:143], v[120:121], s[6:7]
	v_add_f64 v[134:135], v[134:135], v[144:145]
	v_add_f64 v[138:139], v[138:139], v[148:149]
	v_add_f64 v[136:137], v[136:137], v[146:147]
	v_mul_f64 v[146:147], v[118:119], s[22:23]
	v_fma_f64 v[144:145], v[130:131], s[4:5], v[142:143]
	v_fma_f64 v[142:143], v[130:131], s[4:5], -v[142:143]
	v_fma_f64 v[148:149], v[128:129], s[24:25], -v[146:147]
	v_fma_f64 v[146:147], v[128:129], s[24:25], v[146:147]
	v_add_f64 v[142:143], v[142:143], v[150:151]
	v_mul_f64 v[150:151], v[120:121], s[22:23]
	v_add_f64 v[144:145], v[144:145], v[152:153]
	v_add_f64 v[148:149], v[148:149], v[156:157]
	v_add_f64 v[146:147], v[146:147], v[154:155]
	v_mul_f64 v[154:155], v[118:119], s[38:39]
	v_fma_f64 v[152:153], v[130:131], s[24:25], v[150:151]
	v_fma_f64 v[150:151], v[130:131], s[24:25], -v[150:151]
	v_fma_f64 v[156:157], v[128:129], s[18:19], -v[154:155]
	v_fma_f64 v[154:155], v[128:129], s[18:19], v[154:155]
	v_add_f64 v[150:151], v[150:151], v[158:159]
	v_mul_f64 v[158:159], v[120:121], s[38:39]
	v_add_f64 v[152:153], v[152:153], v[160:161]
	v_add_f64 v[156:157], v[156:157], v[164:165]
	v_add_f64 v[154:155], v[154:155], v[162:163]
	v_mul_f64 v[162:163], v[118:119], s[14:15]
	v_fma_f64 v[160:161], v[130:131], s[18:19], v[158:159]
	v_fma_f64 v[158:159], v[130:131], s[18:19], -v[158:159]
	v_mul_f64 v[118:119], v[118:119], s[28:29]
	v_fma_f64 v[164:165], v[128:129], s[0:1], -v[162:163]
	v_fma_f64 v[162:163], v[128:129], s[0:1], v[162:163]
	v_add_f64 v[158:159], v[158:159], v[166:167]
	v_mul_f64 v[166:167], v[120:121], s[14:15]
	v_mul_f64 v[120:121], v[120:121], s[28:29]
	v_add_f64 v[160:161], v[160:161], v[168:169]
	v_add_f64 v[164:165], v[164:165], v[172:173]
	;; [unrolled: 1-line block ×3, first 2 shown]
	v_fma_f64 v[170:171], v[128:129], s[16:17], -v[118:119]
	v_fma_f64 v[118:119], v[128:129], s[16:17], v[118:119]
	v_fma_f64 v[172:173], v[130:131], s[16:17], v[120:121]
	v_fma_f64 v[168:169], v[130:131], s[0:1], v[166:167]
	v_fma_f64 v[166:167], v[130:131], s[0:1], -v[166:167]
	v_add_f64 v[170:171], v[170:171], v[178:179]
	v_add_f64 v[84:85], v[118:119], v[84:85]
	v_fma_f64 v[118:119], v[130:131], s[16:17], -v[120:121]
	v_add_f64 v[120:121], v[110:111], v[114:115]
	v_add_f64 v[110:111], v[110:111], -v[114:115]
	v_add_f64 v[166:167], v[166:167], v[174:175]
	v_add_f64 v[168:169], v[168:169], v[176:177]
	;; [unrolled: 1-line block ×5, first 2 shown]
	v_mul_f64 v[114:115], v[110:111], s[34:35]
	v_add_f64 v[116:117], v[116:117], -v[122:123]
	v_fma_f64 v[122:123], v[118:119], s[0:1], -v[114:115]
	v_fma_f64 v[114:115], v[118:119], s[0:1], v[114:115]
	v_add_f64 v[122:123], v[122:123], v[126:127]
	v_mul_f64 v[126:127], v[116:117], s[34:35]
	v_add_f64 v[114:115], v[114:115], v[124:125]
	v_fma_f64 v[128:129], v[120:121], s[0:1], v[126:127]
	v_fma_f64 v[124:125], v[120:121], s[0:1], -v[126:127]
	v_mul_f64 v[126:127], v[110:111], s[22:23]
	v_add_f64 v[128:129], v[128:129], v[134:135]
	v_add_f64 v[124:125], v[124:125], v[132:133]
	v_fma_f64 v[130:131], v[118:119], s[24:25], -v[126:127]
	v_fma_f64 v[126:127], v[118:119], s[24:25], v[126:127]
	v_mul_f64 v[132:133], v[116:117], s[22:23]
	v_add_f64 v[130:131], v[130:131], v[138:139]
	v_add_f64 v[126:127], v[126:127], v[136:137]
	v_mul_f64 v[136:137], v[110:111], s[44:45]
	v_fma_f64 v[134:135], v[120:121], s[24:25], v[132:133]
	v_fma_f64 v[132:133], v[120:121], s[24:25], -v[132:133]
	v_fma_f64 v[138:139], v[118:119], s[4:5], -v[136:137]
	v_fma_f64 v[136:137], v[118:119], s[4:5], v[136:137]
	v_add_f64 v[132:133], v[132:133], v[142:143]
	v_mul_f64 v[142:143], v[116:117], s[44:45]
	v_add_f64 v[134:135], v[134:135], v[144:145]
	v_add_f64 v[138:139], v[138:139], v[148:149]
	;; [unrolled: 1-line block ×3, first 2 shown]
	v_mul_f64 v[146:147], v[110:111], s[28:29]
	v_fma_f64 v[144:145], v[120:121], s[4:5], v[142:143]
	v_fma_f64 v[142:143], v[120:121], s[4:5], -v[142:143]
	v_fma_f64 v[148:149], v[118:119], s[16:17], -v[146:147]
	v_fma_f64 v[146:147], v[118:119], s[16:17], v[146:147]
	v_add_f64 v[142:143], v[142:143], v[150:151]
	v_mul_f64 v[150:151], v[116:117], s[28:29]
	v_add_f64 v[144:145], v[144:145], v[152:153]
	v_add_f64 v[148:149], v[148:149], v[156:157]
	;; [unrolled: 1-line block ×3, first 2 shown]
	v_mul_f64 v[154:155], v[110:111], s[26:27]
	v_fma_f64 v[152:153], v[120:121], s[16:17], v[150:151]
	v_fma_f64 v[150:151], v[120:121], s[16:17], -v[150:151]
	v_mul_f64 v[110:111], v[110:111], s[20:21]
	v_fma_f64 v[156:157], v[118:119], s[12:13], -v[154:155]
	v_fma_f64 v[154:155], v[118:119], s[12:13], v[154:155]
	v_add_f64 v[150:151], v[150:151], v[158:159]
	v_mul_f64 v[158:159], v[116:117], s[26:27]
	v_mul_f64 v[116:117], v[116:117], s[20:21]
	v_add_f64 v[152:153], v[152:153], v[160:161]
	v_add_f64 v[156:157], v[156:157], v[164:165]
	v_add_f64 v[154:155], v[154:155], v[162:163]
	v_fma_f64 v[162:163], v[118:119], s[18:19], -v[110:111]
	v_fma_f64 v[110:111], v[118:119], s[18:19], v[110:111]
	v_fma_f64 v[164:165], v[120:121], s[18:19], v[116:117]
	;; [unrolled: 1-line block ×3, first 2 shown]
	v_fma_f64 v[158:159], v[120:121], s[12:13], -v[158:159]
	v_add_f64 v[162:163], v[162:163], v[170:171]
	v_add_f64 v[84:85], v[110:111], v[84:85]
	v_fma_f64 v[110:111], v[120:121], s[18:19], -v[116:117]
	v_add_f64 v[116:117], v[102:103], v[108:109]
	v_add_f64 v[102:103], v[102:103], -v[108:109]
	v_add_f64 v[158:159], v[158:159], v[166:167]
	v_add_f64 v[160:161], v[160:161], v[168:169]
	;; [unrolled: 1-line block ×5, first 2 shown]
	v_add_f64 v[106:107], v[106:107], -v[112:113]
	v_mul_f64 v[108:109], v[102:103], s[6:7]
	v_mul_f64 v[118:119], v[106:107], s[6:7]
	v_fma_f64 v[112:113], v[110:111], s[4:5], -v[108:109]
	v_fma_f64 v[108:109], v[110:111], s[4:5], v[108:109]
	v_fma_f64 v[120:121], v[116:117], s[4:5], v[118:119]
	v_add_f64 v[112:113], v[112:113], v[122:123]
	v_add_f64 v[108:109], v[108:109], v[114:115]
	v_fma_f64 v[114:115], v[116:117], s[4:5], -v[118:119]
	v_mul_f64 v[118:119], v[102:103], s[38:39]
	v_add_f64 v[120:121], v[120:121], v[128:129]
	v_add_f64 v[114:115], v[114:115], v[124:125]
	v_fma_f64 v[122:123], v[110:111], s[18:19], -v[118:119]
	v_mul_f64 v[124:125], v[106:107], s[38:39]
	v_fma_f64 v[118:119], v[110:111], s[18:19], v[118:119]
	v_add_f64 v[122:123], v[122:123], v[130:131]
	v_fma_f64 v[128:129], v[116:117], s[18:19], v[124:125]
	v_add_f64 v[118:119], v[118:119], v[126:127]
	v_fma_f64 v[124:125], v[116:117], s[18:19], -v[124:125]
	v_mul_f64 v[126:127], v[102:103], s[28:29]
	v_add_f64 v[128:129], v[128:129], v[134:135]
	v_add_f64 v[124:125], v[124:125], v[132:133]
	v_fma_f64 v[130:131], v[110:111], s[16:17], -v[126:127]
	v_mul_f64 v[132:133], v[106:107], s[28:29]
	v_fma_f64 v[126:127], v[110:111], s[16:17], v[126:127]
	v_add_f64 v[130:131], v[130:131], v[138:139]
	v_fma_f64 v[134:135], v[116:117], s[16:17], v[132:133]
	;; [unrolled: 10-line block ×3, first 2 shown]
	v_add_f64 v[136:137], v[136:137], v[146:147]
	v_fma_f64 v[142:143], v[116:117], s[0:1], -v[142:143]
	v_mul_f64 v[146:147], v[102:103], s[42:43]
	v_mul_f64 v[102:103], v[102:103], s[36:37]
	v_add_f64 v[144:145], v[144:145], v[152:153]
	v_add_f64 v[142:143], v[142:143], v[150:151]
	v_fma_f64 v[148:149], v[110:111], s[24:25], -v[146:147]
	v_mul_f64 v[150:151], v[106:107], s[42:43]
	v_fma_f64 v[146:147], v[110:111], s[24:25], v[146:147]
	v_mul_f64 v[106:107], v[106:107], s[36:37]
	v_add_f64 v[148:149], v[148:149], v[156:157]
	v_fma_f64 v[152:153], v[116:117], s[24:25], v[150:151]
	v_add_f64 v[146:147], v[146:147], v[154:155]
	v_fma_f64 v[150:151], v[116:117], s[24:25], -v[150:151]
	v_fma_f64 v[154:155], v[110:111], s[12:13], -v[102:103]
	v_fma_f64 v[102:103], v[110:111], s[12:13], v[102:103]
	v_fma_f64 v[156:157], v[116:117], s[12:13], v[106:107]
	v_add_f64 v[152:153], v[152:153], v[160:161]
	v_add_f64 v[150:151], v[150:151], v[158:159]
	;; [unrolled: 1-line block ×4, first 2 shown]
	v_fma_f64 v[102:103], v[116:117], s[12:13], -v[106:107]
	v_add_f64 v[96:97], v[96:97], -v[98:99]
	v_add_f64 v[156:157], v[156:157], v[164:165]
	v_add_f64 v[154:155], v[154:155], v[162:163]
	;; [unrolled: 1-line block ×4, first 2 shown]
	v_mul_f64 v[98:99], v[96:97], s[20:21]
	v_add_f64 v[100:101], v[100:101], -v[104:105]
	v_fma_f64 v[104:105], v[102:103], s[18:19], -v[98:99]
	v_fma_f64 v[98:99], v[102:103], s[18:19], v[98:99]
	v_add_f64 v[160:161], v[104:105], v[112:113]
	v_mul_f64 v[104:105], v[100:101], s[20:21]
	v_add_f64 v[98:99], v[98:99], v[108:109]
	v_mul_f64 v[112:113], v[96:97], s[42:43]
	v_fma_f64 v[106:107], v[158:159], s[18:19], v[104:105]
	v_fma_f64 v[104:105], v[158:159], s[18:19], -v[104:105]
	v_add_f64 v[162:163], v[106:107], v[120:121]
	v_add_f64 v[164:165], v[104:105], v[114:115]
	v_mul_f64 v[104:105], v[96:97], s[14:15]
	v_mul_f64 v[114:115], v[100:101], s[42:43]
	v_fma_f64 v[106:107], v[102:103], s[0:1], -v[104:105]
	v_fma_f64 v[104:105], v[102:103], s[0:1], v[104:105]
	v_fma_f64 v[110:111], v[158:159], s[24:25], v[114:115]
	v_add_f64 v[166:167], v[106:107], v[122:123]
	v_mul_f64 v[106:107], v[100:101], s[14:15]
	v_add_f64 v[170:171], v[104:105], v[118:119]
	v_add_f64 v[118:119], v[92:93], v[94:95]
	v_add_f64 v[122:123], v[92:93], -v[94:95]
	v_add_f64 v[110:111], v[110:111], v[144:145]
	v_fma_f64 v[104:105], v[158:159], s[0:1], -v[106:107]
	v_fma_f64 v[108:109], v[158:159], s[0:1], v[106:107]
	v_mul_f64 v[144:145], v[122:123], s[20:21]
	v_add_f64 v[172:173], v[104:105], v[124:125]
	v_mul_f64 v[104:105], v[96:97], s[26:27]
	v_add_f64 v[168:169], v[108:109], v[128:129]
	v_fma_f64 v[106:107], v[102:103], s[12:13], -v[104:105]
	v_fma_f64 v[104:105], v[102:103], s[12:13], v[104:105]
	v_add_f64 v[174:175], v[106:107], v[130:131]
	v_mul_f64 v[106:107], v[100:101], s[26:27]
	v_add_f64 v[104:105], v[104:105], v[126:127]
	v_fma_f64 v[108:109], v[158:159], s[12:13], v[106:107]
	v_fma_f64 v[106:107], v[158:159], s[12:13], -v[106:107]
	v_add_f64 v[176:177], v[108:109], v[134:135]
	v_fma_f64 v[108:109], v[102:103], s[24:25], -v[112:113]
	v_fma_f64 v[112:113], v[102:103], s[24:25], v[112:113]
	v_add_f64 v[106:107], v[106:107], v[132:133]
	v_add_f64 v[108:109], v[108:109], v[138:139]
	;; [unrolled: 1-line block ×3, first 2 shown]
	v_fma_f64 v[112:113], v[158:159], s[24:25], -v[114:115]
	v_add_f64 v[138:139], v[88:89], -v[90:91]
	v_add_f64 v[134:135], v[112:113], v[142:143]
	v_mul_f64 v[112:113], v[96:97], s[28:29]
	v_mul_f64 v[96:97], v[96:97], s[6:7]
	;; [unrolled: 1-line block ×3, first 2 shown]
	v_fma_f64 v[114:115], v[102:103], s[16:17], -v[112:113]
	v_fma_f64 v[112:113], v[102:103], s[16:17], v[112:113]
	v_add_f64 v[130:131], v[114:115], v[148:149]
	v_mul_f64 v[114:115], v[100:101], s[28:29]
	v_add_f64 v[128:129], v[112:113], v[146:147]
	v_mul_f64 v[100:101], v[100:101], s[6:7]
	v_fma_f64 v[112:113], v[158:159], s[16:17], -v[114:115]
	v_fma_f64 v[116:117], v[158:159], s[16:17], v[114:115]
	v_add_f64 v[114:115], v[88:89], v[90:91]
	v_mul_f64 v[88:89], v[138:139], s[22:23]
	v_mul_f64 v[90:91], v[122:123], s[22:23]
	v_add_f64 v[126:127], v[112:113], v[150:151]
	v_fma_f64 v[112:113], v[102:103], s[4:5], -v[96:97]
	v_fma_f64 v[96:97], v[102:103], s[4:5], v[96:97]
	v_add_f64 v[132:133], v[116:117], v[152:153]
	v_fma_f64 v[102:103], v[114:115], s[18:19], v[144:145]
	v_add_f64 v[124:125], v[112:113], v[154:155]
	;; [unrolled: 2-line block ×3, first 2 shown]
	v_fma_f64 v[84:85], v[158:159], s[4:5], -v[100:101]
	v_fma_f64 v[100:101], v[118:119], s[18:19], -v[142:143]
	v_fma_f64 v[142:143], v[118:119], s[18:19], v[142:143]
	v_mul_f64 v[96:97], v[138:139], s[28:29]
	v_add_f64 v[102:103], v[102:103], v[176:177]
	v_mad_u64_u32 v[154:155], null, 0xc0, v200, s[30:31]
	v_add_f64 v[120:121], v[112:113], v[156:157]
	v_add_f64 v[112:113], v[84:85], v[86:87]
	v_fma_f64 v[84:85], v[118:119], s[24:25], -v[88:89]
	v_add_f64 v[104:105], v[142:143], v[104:105]
	v_fma_f64 v[142:143], v[114:115], s[18:19], -v[144:145]
	v_fma_f64 v[88:89], v[118:119], s[24:25], v[88:89]
	v_fma_f64 v[86:87], v[114:115], s[24:25], v[90:91]
	v_fma_f64 v[90:91], v[114:115], s[24:25], -v[90:91]
	v_fma_f64 v[92:93], v[118:119], s[16:17], -v[96:97]
	v_fma_f64 v[96:97], v[118:119], s[16:17], v[96:97]
	v_add_f64 v[100:101], v[100:101], v[174:175]
	v_add_f64 v[84:85], v[84:85], v[160:161]
	;; [unrolled: 1-line block ×3, first 2 shown]
	v_mul_f64 v[142:143], v[138:139], s[36:37]
	v_add_f64 v[88:89], v[88:89], v[98:99]
	v_mul_f64 v[98:99], v[122:123], s[28:29]
	v_add_f64 v[86:87], v[86:87], v[162:163]
	v_add_f64 v[92:93], v[92:93], v[166:167]
	;; [unrolled: 1-line block ×4, first 2 shown]
	v_fma_f64 v[144:145], v[118:119], s[12:13], -v[142:143]
	v_fma_f64 v[142:143], v[118:119], s[12:13], v[142:143]
	v_fma_f64 v[94:95], v[114:115], s[16:17], v[98:99]
	v_fma_f64 v[98:99], v[114:115], s[16:17], -v[98:99]
	v_add_f64 v[108:109], v[144:145], v[108:109]
	v_mul_f64 v[144:145], v[122:123], s[36:37]
	v_add_f64 v[142:143], v[142:143], v[136:137]
	v_add_f64 v[94:95], v[94:95], v[168:169]
	;; [unrolled: 1-line block ×3, first 2 shown]
	v_fma_f64 v[136:137], v[114:115], s[12:13], -v[144:145]
	v_fma_f64 v[146:147], v[114:115], s[12:13], v[144:145]
	v_add_f64 v[144:145], v[136:137], v[134:135]
	v_mul_f64 v[134:135], v[138:139], s[6:7]
	v_add_f64 v[110:111], v[146:147], v[110:111]
	v_fma_f64 v[136:137], v[118:119], s[4:5], -v[134:135]
	v_fma_f64 v[134:135], v[118:119], s[4:5], v[134:135]
	v_add_f64 v[130:131], v[136:137], v[130:131]
	v_mul_f64 v[136:137], v[122:123], s[6:7]
	v_add_f64 v[134:135], v[134:135], v[128:129]
	v_mul_f64 v[122:123], v[122:123], s[14:15]
	v_fma_f64 v[128:129], v[114:115], s[4:5], -v[136:137]
	v_fma_f64 v[146:147], v[114:115], s[4:5], v[136:137]
	v_add_f64 v[136:137], v[128:129], v[126:127]
	v_mul_f64 v[128:129], v[138:139], s[14:15]
	v_add_f64 v[132:133], v[146:147], v[132:133]
	v_fma_f64 v[126:127], v[118:119], s[0:1], -v[128:129]
	v_fma_f64 v[118:119], v[118:119], s[0:1], v[128:129]
	v_add_f64 v[124:125], v[126:127], v[124:125]
	v_fma_f64 v[126:127], v[114:115], s[0:1], v[122:123]
	v_fma_f64 v[114:115], v[114:115], s[0:1], -v[122:123]
	v_add_f64 v[116:117], v[118:119], v[116:117]
	v_add_f64 v[126:127], v[126:127], v[120:121]
	;; [unrolled: 1-line block ×3, first 2 shown]
	v_mov_b32_e32 v112, 0x5b
	v_mul_u32_u24_sdwa v112, v140, v112 dst_sel:DWORD dst_unused:UNUSED_PAD src0_sel:WORD_0 src1_sel:DWORD
	v_add_nc_u32_sdwa v112, v112, v141 dst_sel:DWORD dst_unused:UNUSED_PAD src0_sel:DWORD src1_sel:BYTE_0
	v_lshl_add_u32 v204, v112, 4, v201
	ds_write_b128 v204, v[80:83]
	ds_write_b128 v204, v[84:87] offset:112
	ds_write_b128 v204, v[92:95] offset:224
	;; [unrolled: 1-line block ×12, first 2 shown]
	s_waitcnt lgkmcnt(0)
	s_barrier
	buffer_gl0_inv
	ds_read_b128 v[132:135], v199
	ds_read_b128 v[92:95], v199 offset:1456
	ds_read_b128 v[96:99], v199 offset:2912
	;; [unrolled: 1-line block ×12, first 2 shown]
	s_clause 0x3
	global_load_dwordx4 v[80:83], v[154:155], off offset:1392
	global_load_dwordx4 v[84:87], v[154:155], off offset:1376
	;; [unrolled: 1-line block ×4, first 2 shown]
	s_waitcnt vmcnt(0) lgkmcnt(11)
	v_mul_f64 v[116:117], v[94:95], v[110:111]
	v_fma_f64 v[178:179], v[92:93], v[108:109], -v[116:117]
	v_mul_f64 v[92:93], v[92:93], v[110:111]
	v_fma_f64 v[205:206], v[94:95], v[108:109], v[92:93]
	s_waitcnt lgkmcnt(10)
	v_mul_f64 v[92:93], v[98:99], v[90:91]
	v_fma_f64 v[168:169], v[96:97], v[88:89], -v[92:93]
	v_mul_f64 v[92:93], v[96:97], v[90:91]
	v_fma_f64 v[166:167], v[98:99], v[88:89], v[92:93]
	s_waitcnt lgkmcnt(9)
	;; [unrolled: 5-line block ×3, first 2 shown]
	v_mul_f64 v[92:93], v[106:107], v[82:83]
	v_fma_f64 v[156:157], v[104:105], v[80:81], -v[92:93]
	v_mul_f64 v[92:93], v[104:105], v[82:83]
	v_fma_f64 v[152:153], v[106:107], v[80:81], v[92:93]
	s_clause 0x3
	global_load_dwordx4 v[92:95], v[154:155], off offset:1456
	global_load_dwordx4 v[96:99], v[154:155], off offset:1440
	;; [unrolled: 1-line block ×4, first 2 shown]
	s_waitcnt vmcnt(0) lgkmcnt(7)
	v_mul_f64 v[104:105], v[114:115], v[118:119]
	v_fma_f64 v[148:149], v[112:113], v[116:117], -v[104:105]
	v_mul_f64 v[104:105], v[112:113], v[118:119]
	v_fma_f64 v[144:145], v[114:115], v[116:117], v[104:105]
	s_waitcnt lgkmcnt(6)
	v_mul_f64 v[104:105], v[122:123], v[102:103]
	v_fma_f64 v[140:141], v[120:121], v[100:101], -v[104:105]
	v_mul_f64 v[104:105], v[120:121], v[102:103]
	v_fma_f64 v[136:137], v[122:123], v[100:101], v[104:105]
	s_waitcnt lgkmcnt(5)
	;; [unrolled: 5-line block ×3, first 2 shown]
	v_mul_f64 v[104:105], v[172:173], v[94:95]
	v_fma_f64 v[150:151], v[170:171], v[92:93], -v[104:105]
	v_mul_f64 v[104:105], v[170:171], v[94:95]
	v_fma_f64 v[146:147], v[172:173], v[92:93], v[104:105]
	s_clause 0x3
	global_load_dwordx4 v[104:107], v[154:155], off offset:1520
	global_load_dwordx4 v[112:115], v[154:155], off offset:1504
	;; [unrolled: 1-line block ×4, first 2 shown]
	s_waitcnt vmcnt(2) lgkmcnt(1)
	v_mul_f64 v[172:173], v[197:198], v[114:115]
	s_waitcnt vmcnt(1)
	v_mul_f64 v[164:165], v[193:194], v[122:123]
	s_waitcnt vmcnt(0)
	v_mul_f64 v[154:155], v[176:177], v[126:127]
	v_fma_f64 v[170:171], v[191:192], v[120:121], -v[164:165]
	v_fma_f64 v[160:161], v[174:175], v[124:125], -v[154:155]
	v_mul_f64 v[154:155], v[174:175], v[126:127]
	v_mul_f64 v[164:165], v[191:192], v[122:123]
	v_fma_f64 v[174:175], v[195:196], v[112:113], -v[172:173]
	v_mul_f64 v[172:173], v[195:196], v[114:115]
	v_fma_f64 v[154:155], v[176:177], v[124:125], v[154:155]
	s_waitcnt lgkmcnt(0)
	v_mul_f64 v[176:177], v[130:131], v[106:107]
	v_fma_f64 v[164:165], v[193:194], v[120:121], v[164:165]
	v_fma_f64 v[172:173], v[197:198], v[112:113], v[172:173]
	v_fma_f64 v[176:177], v[128:129], v[104:105], -v[176:177]
	v_mul_f64 v[128:129], v[128:129], v[106:107]
	v_add_f64 v[193:194], v[178:179], v[176:177]
	v_fma_f64 v[191:192], v[130:131], v[104:105], v[128:129]
	v_add_f64 v[128:129], v[132:133], v[178:179]
	v_add_f64 v[130:131], v[134:135], v[205:206]
	;; [unrolled: 1-line block ×24, first 2 shown]
	v_add_f64 v[176:177], v[178:179], -v[176:177]
	v_add_f64 v[178:179], v[205:206], -v[191:192]
	v_add_f64 v[130:131], v[130:131], v[191:192]
	v_mul_f64 v[205:206], v[176:177], s[40:41]
	v_mul_f64 v[191:192], v[178:179], s[40:41]
	;; [unrolled: 1-line block ×12, first 2 shown]
	v_fma_f64 v[207:208], v[195:196], s[16:17], v[205:206]
	v_fma_f64 v[197:198], v[193:194], s[16:17], -v[191:192]
	v_fma_f64 v[191:192], v[193:194], s[16:17], v[191:192]
	v_fma_f64 v[211:212], v[193:194], s[12:13], -v[209:210]
	;; [unrolled: 2-line block ×11, first 2 shown]
	v_fma_f64 v[243:244], v[195:196], s[24:25], v[176:177]
	v_add_f64 v[197:198], v[132:133], v[197:198]
	v_add_f64 v[191:192], v[132:133], v[191:192]
	;; [unrolled: 1-line block ×12, first 2 shown]
	v_fma_f64 v[176:177], v[195:196], s[24:25], -v[176:177]
	v_add_f64 v[178:179], v[166:167], v[172:173]
	v_add_f64 v[166:167], v[166:167], -v[172:173]
	v_add_f64 v[207:208], v[134:135], v[207:208]
	v_add_f64 v[205:206], v[134:135], v[205:206]
	;; [unrolled: 1-line block ×13, first 2 shown]
	v_add_f64 v[168:169], v[168:169], -v[174:175]
	v_mul_f64 v[172:173], v[166:167], s[26:27]
	v_mul_f64 v[193:194], v[168:169], s[26:27]
	v_fma_f64 v[174:175], v[176:177], s[12:13], -v[172:173]
	v_fma_f64 v[172:173], v[176:177], s[12:13], v[172:173]
	v_fma_f64 v[195:196], v[178:179], s[12:13], v[193:194]
	v_add_f64 v[174:175], v[174:175], v[197:198]
	v_add_f64 v[172:173], v[172:173], v[191:192]
	v_fma_f64 v[191:192], v[178:179], s[12:13], -v[193:194]
	v_mul_f64 v[193:194], v[166:167], s[6:7]
	v_add_f64 v[195:196], v[195:196], v[207:208]
	v_add_f64 v[191:192], v[191:192], v[205:206]
	v_fma_f64 v[197:198], v[176:177], s[4:5], -v[193:194]
	v_fma_f64 v[193:194], v[176:177], s[4:5], v[193:194]
	v_mul_f64 v[205:206], v[168:169], s[6:7]
	v_add_f64 v[197:198], v[197:198], v[211:212]
	v_add_f64 v[193:194], v[193:194], v[209:210]
	v_mul_f64 v[209:210], v[166:167], s[22:23]
	v_fma_f64 v[207:208], v[178:179], s[4:5], v[205:206]
	v_fma_f64 v[205:206], v[178:179], s[4:5], -v[205:206]
	v_fma_f64 v[211:212], v[176:177], s[24:25], -v[209:210]
	v_fma_f64 v[209:210], v[176:177], s[24:25], v[209:210]
	v_add_f64 v[205:206], v[205:206], v[213:214]
	v_mul_f64 v[213:214], v[168:169], s[22:23]
	v_add_f64 v[207:208], v[207:208], v[215:216]
	v_add_f64 v[211:212], v[211:212], v[219:220]
	;; [unrolled: 1-line block ×3, first 2 shown]
	v_mul_f64 v[217:218], v[166:167], s[38:39]
	v_fma_f64 v[215:216], v[178:179], s[24:25], v[213:214]
	v_fma_f64 v[213:214], v[178:179], s[24:25], -v[213:214]
	v_fma_f64 v[219:220], v[176:177], s[18:19], -v[217:218]
	v_fma_f64 v[217:218], v[176:177], s[18:19], v[217:218]
	v_add_f64 v[213:214], v[213:214], v[221:222]
	v_mul_f64 v[221:222], v[168:169], s[38:39]
	v_add_f64 v[215:216], v[215:216], v[223:224]
	v_add_f64 v[219:220], v[219:220], v[227:228]
	;; [unrolled: 1-line block ×3, first 2 shown]
	v_mul_f64 v[225:226], v[166:167], s[14:15]
	v_fma_f64 v[223:224], v[178:179], s[18:19], v[221:222]
	v_fma_f64 v[221:222], v[178:179], s[18:19], -v[221:222]
	v_mul_f64 v[166:167], v[166:167], s[28:29]
	v_fma_f64 v[227:228], v[176:177], s[0:1], -v[225:226]
	v_fma_f64 v[225:226], v[176:177], s[0:1], v[225:226]
	v_add_f64 v[221:222], v[221:222], v[229:230]
	v_mul_f64 v[229:230], v[168:169], s[14:15]
	v_mul_f64 v[168:169], v[168:169], s[28:29]
	v_add_f64 v[223:224], v[223:224], v[231:232]
	v_add_f64 v[227:228], v[227:228], v[235:236]
	;; [unrolled: 1-line block ×3, first 2 shown]
	v_fma_f64 v[233:234], v[176:177], s[16:17], -v[166:167]
	v_fma_f64 v[166:167], v[176:177], s[16:17], v[166:167]
	v_fma_f64 v[235:236], v[178:179], s[16:17], v[168:169]
	;; [unrolled: 1-line block ×3, first 2 shown]
	v_fma_f64 v[229:230], v[178:179], s[0:1], -v[229:230]
	v_add_f64 v[233:234], v[233:234], v[241:242]
	v_add_f64 v[132:133], v[166:167], v[132:133]
	v_fma_f64 v[166:167], v[178:179], s[16:17], -v[168:169]
	v_add_f64 v[168:169], v[158:159], v[164:165]
	v_add_f64 v[158:159], v[158:159], -v[164:165]
	v_add_f64 v[231:232], v[231:232], v[239:240]
	v_add_f64 v[229:230], v[229:230], v[237:238]
	;; [unrolled: 1-line block ×5, first 2 shown]
	v_mul_f64 v[164:165], v[158:159], s[34:35]
	v_add_f64 v[162:163], v[162:163], -v[170:171]
	v_fma_f64 v[170:171], v[166:167], s[0:1], -v[164:165]
	v_fma_f64 v[164:165], v[166:167], s[0:1], v[164:165]
	v_add_f64 v[170:171], v[170:171], v[174:175]
	v_mul_f64 v[174:175], v[162:163], s[34:35]
	v_add_f64 v[164:165], v[164:165], v[172:173]
	v_fma_f64 v[176:177], v[168:169], s[0:1], v[174:175]
	v_fma_f64 v[172:173], v[168:169], s[0:1], -v[174:175]
	v_mul_f64 v[174:175], v[158:159], s[22:23]
	v_add_f64 v[176:177], v[176:177], v[195:196]
	v_add_f64 v[172:173], v[172:173], v[191:192]
	v_fma_f64 v[178:179], v[166:167], s[24:25], -v[174:175]
	v_fma_f64 v[174:175], v[166:167], s[24:25], v[174:175]
	v_mul_f64 v[191:192], v[162:163], s[22:23]
	v_add_f64 v[178:179], v[178:179], v[197:198]
	v_add_f64 v[174:175], v[174:175], v[193:194]
	v_mul_f64 v[193:194], v[158:159], s[44:45]
	v_fma_f64 v[195:196], v[168:169], s[24:25], v[191:192]
	v_fma_f64 v[191:192], v[168:169], s[24:25], -v[191:192]
	v_fma_f64 v[197:198], v[166:167], s[4:5], -v[193:194]
	v_fma_f64 v[193:194], v[166:167], s[4:5], v[193:194]
	v_add_f64 v[191:192], v[191:192], v[205:206]
	v_mul_f64 v[205:206], v[162:163], s[44:45]
	v_add_f64 v[195:196], v[195:196], v[207:208]
	v_add_f64 v[197:198], v[197:198], v[211:212]
	;; [unrolled: 1-line block ×3, first 2 shown]
	v_mul_f64 v[209:210], v[158:159], s[28:29]
	v_fma_f64 v[207:208], v[168:169], s[4:5], v[205:206]
	v_fma_f64 v[205:206], v[168:169], s[4:5], -v[205:206]
	v_fma_f64 v[211:212], v[166:167], s[16:17], -v[209:210]
	v_fma_f64 v[209:210], v[166:167], s[16:17], v[209:210]
	v_add_f64 v[205:206], v[205:206], v[213:214]
	v_mul_f64 v[213:214], v[162:163], s[28:29]
	v_add_f64 v[207:208], v[207:208], v[215:216]
	v_add_f64 v[211:212], v[211:212], v[219:220]
	;; [unrolled: 1-line block ×3, first 2 shown]
	v_mul_f64 v[217:218], v[158:159], s[26:27]
	v_fma_f64 v[215:216], v[168:169], s[16:17], v[213:214]
	v_fma_f64 v[213:214], v[168:169], s[16:17], -v[213:214]
	v_mul_f64 v[158:159], v[158:159], s[20:21]
	v_fma_f64 v[219:220], v[166:167], s[12:13], -v[217:218]
	v_fma_f64 v[217:218], v[166:167], s[12:13], v[217:218]
	v_add_f64 v[213:214], v[213:214], v[221:222]
	v_mul_f64 v[221:222], v[162:163], s[26:27]
	v_mul_f64 v[162:163], v[162:163], s[20:21]
	v_add_f64 v[215:216], v[215:216], v[223:224]
	v_add_f64 v[219:220], v[219:220], v[227:228]
	;; [unrolled: 1-line block ×3, first 2 shown]
	v_fma_f64 v[225:226], v[166:167], s[18:19], -v[158:159]
	v_fma_f64 v[158:159], v[166:167], s[18:19], v[158:159]
	v_fma_f64 v[227:228], v[168:169], s[18:19], v[162:163]
	;; [unrolled: 1-line block ×3, first 2 shown]
	v_fma_f64 v[221:222], v[168:169], s[12:13], -v[221:222]
	v_add_f64 v[225:226], v[225:226], v[233:234]
	v_add_f64 v[132:133], v[158:159], v[132:133]
	v_fma_f64 v[158:159], v[168:169], s[18:19], -v[162:163]
	v_add_f64 v[162:163], v[152:153], v[154:155]
	v_add_f64 v[152:153], v[152:153], -v[154:155]
	v_add_f64 v[223:224], v[223:224], v[231:232]
	v_add_f64 v[221:222], v[221:222], v[229:230]
	;; [unrolled: 1-line block ×5, first 2 shown]
	v_add_f64 v[156:157], v[156:157], -v[160:161]
	v_mul_f64 v[154:155], v[152:153], s[6:7]
	v_mul_f64 v[166:167], v[156:157], s[6:7]
	v_fma_f64 v[160:161], v[158:159], s[4:5], -v[154:155]
	v_fma_f64 v[154:155], v[158:159], s[4:5], v[154:155]
	v_fma_f64 v[168:169], v[162:163], s[4:5], v[166:167]
	v_add_f64 v[160:161], v[160:161], v[170:171]
	v_add_f64 v[154:155], v[154:155], v[164:165]
	v_fma_f64 v[164:165], v[162:163], s[4:5], -v[166:167]
	v_mul_f64 v[166:167], v[152:153], s[38:39]
	v_add_f64 v[168:169], v[168:169], v[176:177]
	v_add_f64 v[164:165], v[164:165], v[172:173]
	v_fma_f64 v[170:171], v[158:159], s[18:19], -v[166:167]
	v_fma_f64 v[166:167], v[158:159], s[18:19], v[166:167]
	v_mul_f64 v[172:173], v[156:157], s[38:39]
	v_add_f64 v[170:171], v[170:171], v[178:179]
	v_add_f64 v[166:167], v[166:167], v[174:175]
	v_mul_f64 v[174:175], v[152:153], s[28:29]
	v_fma_f64 v[176:177], v[162:163], s[18:19], v[172:173]
	v_fma_f64 v[172:173], v[162:163], s[18:19], -v[172:173]
	v_fma_f64 v[178:179], v[158:159], s[16:17], -v[174:175]
	v_fma_f64 v[174:175], v[158:159], s[16:17], v[174:175]
	v_add_f64 v[172:173], v[172:173], v[191:192]
	v_mul_f64 v[191:192], v[156:157], s[28:29]
	v_add_f64 v[176:177], v[176:177], v[195:196]
	v_add_f64 v[178:179], v[178:179], v[197:198]
	;; [unrolled: 1-line block ×3, first 2 shown]
	v_mul_f64 v[193:194], v[152:153], s[34:35]
	v_fma_f64 v[195:196], v[162:163], s[16:17], v[191:192]
	v_fma_f64 v[191:192], v[162:163], s[16:17], -v[191:192]
	v_fma_f64 v[197:198], v[158:159], s[0:1], -v[193:194]
	v_fma_f64 v[193:194], v[158:159], s[0:1], v[193:194]
	v_add_f64 v[191:192], v[191:192], v[205:206]
	v_mul_f64 v[205:206], v[156:157], s[34:35]
	v_add_f64 v[195:196], v[195:196], v[207:208]
	v_add_f64 v[197:198], v[197:198], v[211:212]
	;; [unrolled: 1-line block ×3, first 2 shown]
	v_mul_f64 v[209:210], v[152:153], s[42:43]
	v_fma_f64 v[207:208], v[162:163], s[0:1], v[205:206]
	v_fma_f64 v[205:206], v[162:163], s[0:1], -v[205:206]
	v_mul_f64 v[152:153], v[152:153], s[36:37]
	v_fma_f64 v[211:212], v[158:159], s[24:25], -v[209:210]
	v_fma_f64 v[209:210], v[158:159], s[24:25], v[209:210]
	v_add_f64 v[205:206], v[205:206], v[213:214]
	v_mul_f64 v[213:214], v[156:157], s[42:43]
	v_mul_f64 v[156:157], v[156:157], s[36:37]
	v_add_f64 v[207:208], v[207:208], v[215:216]
	v_add_f64 v[211:212], v[211:212], v[219:220]
	;; [unrolled: 1-line block ×3, first 2 shown]
	v_fma_f64 v[217:218], v[158:159], s[12:13], -v[152:153]
	v_fma_f64 v[152:153], v[158:159], s[12:13], v[152:153]
	v_fma_f64 v[215:216], v[162:163], s[24:25], v[213:214]
	v_fma_f64 v[213:214], v[162:163], s[24:25], -v[213:214]
	v_fma_f64 v[219:220], v[162:163], s[12:13], v[156:157]
	v_add_f64 v[158:159], v[148:149], -v[150:151]
	v_add_f64 v[217:218], v[217:218], v[225:226]
	v_add_f64 v[132:133], v[152:153], v[132:133]
	v_fma_f64 v[152:153], v[162:163], s[12:13], -v[156:157]
	v_add_f64 v[162:163], v[144:145], -v[146:147]
	v_add_f64 v[156:157], v[144:145], v[146:147]
	v_add_f64 v[215:216], v[215:216], v[223:224]
	;; [unrolled: 1-line block ×6, first 2 shown]
	v_mul_f64 v[144:145], v[162:163], s[20:21]
	v_fma_f64 v[146:147], v[152:153], s[18:19], -v[144:145]
	v_fma_f64 v[144:145], v[152:153], s[18:19], v[144:145]
	v_add_f64 v[160:161], v[146:147], v[160:161]
	v_mul_f64 v[146:147], v[158:159], s[20:21]
	v_add_f64 v[223:224], v[144:145], v[154:155]
	v_fma_f64 v[144:145], v[156:157], s[18:19], -v[146:147]
	v_fma_f64 v[148:149], v[156:157], s[18:19], v[146:147]
	v_add_f64 v[164:165], v[144:145], v[164:165]
	v_mul_f64 v[144:145], v[162:163], s[14:15]
	v_add_f64 v[221:222], v[148:149], v[168:169]
	;; [unrolled: 5-line block ×4, first 2 shown]
	v_add_f64 v[172:173], v[136:137], v[138:139]
	v_fma_f64 v[146:147], v[152:153], s[12:13], -v[144:145]
	v_fma_f64 v[144:145], v[152:153], s[12:13], v[144:145]
	v_add_f64 v[231:232], v[146:147], v[178:179]
	v_mul_f64 v[146:147], v[158:159], s[26:27]
	v_add_f64 v[235:236], v[144:145], v[174:175]
	v_add_f64 v[174:175], v[140:141], v[142:143]
	v_fma_f64 v[144:145], v[156:157], s[12:13], -v[146:147]
	v_fma_f64 v[148:149], v[156:157], s[12:13], v[146:147]
	v_add_f64 v[237:238], v[144:145], v[191:192]
	v_mul_f64 v[144:145], v[162:163], s[42:43]
	v_add_f64 v[233:234], v[148:149], v[195:196]
	v_add_f64 v[191:192], v[140:141], -v[142:143]
	v_fma_f64 v[146:147], v[152:153], s[24:25], -v[144:145]
	v_fma_f64 v[144:145], v[152:153], s[24:25], v[144:145]
	v_add_f64 v[168:169], v[146:147], v[197:198]
	v_mul_f64 v[146:147], v[158:159], s[42:43]
	v_add_f64 v[144:145], v[144:145], v[193:194]
	v_add_f64 v[197:198], v[136:137], -v[138:139]
	v_fma_f64 v[148:149], v[156:157], s[24:25], v[146:147]
	v_fma_f64 v[146:147], v[156:157], s[24:25], -v[146:147]
	v_add_f64 v[170:171], v[148:149], v[207:208]
	v_mul_f64 v[148:149], v[162:163], s[28:29]
	v_add_f64 v[146:147], v[146:147], v[205:206]
	v_mul_f64 v[205:206], v[197:198], s[36:37]
	v_fma_f64 v[150:151], v[152:153], s[16:17], -v[148:149]
	v_fma_f64 v[148:149], v[152:153], s[16:17], v[148:149]
	v_fma_f64 v[207:208], v[174:175], s[12:13], -v[205:206]
	v_fma_f64 v[205:206], v[174:175], s[12:13], v[205:206]
	v_add_f64 v[193:194], v[150:151], v[211:212]
	v_mul_f64 v[150:151], v[158:159], s[28:29]
	v_mul_f64 v[158:159], v[158:159], s[6:7]
	v_add_f64 v[168:169], v[207:208], v[168:169]
	v_mul_f64 v[207:208], v[191:192], s[36:37]
	v_add_f64 v[144:145], v[205:206], v[144:145]
	v_add_f64 v[148:149], v[148:149], v[209:210]
	v_fma_f64 v[154:155], v[156:157], s[16:17], v[150:151]
	v_fma_f64 v[150:151], v[156:157], s[16:17], -v[150:151]
	v_fma_f64 v[205:206], v[172:173], s[12:13], -v[207:208]
	v_fma_f64 v[209:210], v[172:173], s[12:13], v[207:208]
	v_add_f64 v[195:196], v[154:155], v[215:216]
	v_mul_f64 v[154:155], v[162:163], s[6:7]
	v_add_f64 v[150:151], v[150:151], v[213:214]
	v_add_f64 v[146:147], v[205:206], v[146:147]
	v_mul_f64 v[205:206], v[197:198], s[6:7]
	v_add_f64 v[170:171], v[209:210], v[170:171]
	v_fma_f64 v[162:163], v[152:153], s[4:5], -v[154:155]
	v_fma_f64 v[152:153], v[152:153], s[4:5], v[154:155]
	v_fma_f64 v[207:208], v[174:175], s[4:5], -v[205:206]
	v_fma_f64 v[205:206], v[174:175], s[4:5], v[205:206]
	v_add_f64 v[178:179], v[162:163], v[217:218]
	v_add_f64 v[152:153], v[152:153], v[132:133]
	v_fma_f64 v[132:133], v[156:157], s[4:5], -v[158:159]
	v_fma_f64 v[162:163], v[156:157], s[4:5], v[158:159]
	v_add_f64 v[193:194], v[207:208], v[193:194]
	v_mul_f64 v[207:208], v[191:192], s[6:7]
	v_add_f64 v[148:149], v[205:206], v[148:149]
	v_add_f64 v[154:155], v[132:133], v[134:135]
	v_mul_f64 v[132:133], v[197:198], s[22:23]
	v_add_f64 v[176:177], v[162:163], v[219:220]
	v_fma_f64 v[205:206], v[172:173], s[4:5], -v[207:208]
	v_fma_f64 v[209:210], v[172:173], s[4:5], v[207:208]
	v_fma_f64 v[134:135], v[174:175], s[24:25], -v[132:133]
	v_fma_f64 v[132:133], v[174:175], s[24:25], v[132:133]
	v_add_f64 v[150:151], v[205:206], v[150:151]
	v_add_f64 v[195:196], v[209:210], v[195:196]
	;; [unrolled: 1-line block ×3, first 2 shown]
	v_mul_f64 v[134:135], v[191:192], s[22:23]
	v_add_f64 v[132:133], v[132:133], v[223:224]
	v_fma_f64 v[136:137], v[172:173], s[24:25], v[134:135]
	v_fma_f64 v[134:135], v[172:173], s[24:25], -v[134:135]
	v_add_f64 v[158:159], v[136:137], v[221:222]
	v_mul_f64 v[136:137], v[197:198], s[28:29]
	v_add_f64 v[134:135], v[134:135], v[164:165]
	v_fma_f64 v[138:139], v[174:175], s[16:17], -v[136:137]
	v_fma_f64 v[136:137], v[174:175], s[16:17], v[136:137]
	v_add_f64 v[160:161], v[138:139], v[225:226]
	v_mul_f64 v[138:139], v[191:192], s[28:29]
	v_add_f64 v[136:137], v[136:137], v[166:167]
	v_fma_f64 v[140:141], v[172:173], s[16:17], v[138:139]
	v_fma_f64 v[138:139], v[172:173], s[16:17], -v[138:139]
	v_add_f64 v[162:163], v[140:141], v[227:228]
	v_mul_f64 v[140:141], v[197:198], s[20:21]
	v_mul_f64 v[197:198], v[197:198], s[14:15]
	v_add_f64 v[138:139], v[138:139], v[229:230]
	v_fma_f64 v[142:143], v[174:175], s[18:19], -v[140:141]
	v_fma_f64 v[205:206], v[174:175], s[0:1], -v[197:198]
	v_fma_f64 v[140:141], v[174:175], s[18:19], v[140:141]
	v_fma_f64 v[174:175], v[174:175], s[0:1], v[197:198]
	v_add_f64 v[164:165], v[142:143], v[231:232]
	v_mul_f64 v[142:143], v[191:192], s[20:21]
	v_add_f64 v[205:206], v[205:206], v[178:179]
	v_mul_f64 v[178:179], v[191:192], s[14:15]
	v_add_f64 v[152:153], v[174:175], v[152:153]
	v_add_f64 v[140:141], v[140:141], v[235:236]
	v_fma_f64 v[166:167], v[172:173], s[18:19], v[142:143]
	v_fma_f64 v[142:143], v[172:173], s[18:19], -v[142:143]
	v_fma_f64 v[191:192], v[172:173], s[0:1], v[178:179]
	v_fma_f64 v[172:173], v[172:173], s[0:1], -v[178:179]
	v_add_f64 v[166:167], v[166:167], v[233:234]
	v_add_f64 v[142:143], v[142:143], v[237:238]
	;; [unrolled: 1-line block ×4, first 2 shown]
	ds_write_b128 v199, v[128:131]
	ds_write_b128 v199, v[156:159] offset:1456
	ds_write_b128 v199, v[160:163] offset:2912
	;; [unrolled: 1-line block ×12, first 2 shown]
	v_add_co_u32 v156, s0, 0x4800, v180
	v_add_co_ci_u32_e64 v157, s0, 0, v181, s0
	s_waitcnt lgkmcnt(0)
	s_barrier
	buffer_gl0_inv
	global_load_dwordx4 v[156:159], v[156:157], off offset:496
	ds_read_b128 v[128:131], v199
	s_waitcnt vmcnt(0) lgkmcnt(0)
	v_mul_f64 v[160:161], v[130:131], v[158:159]
	v_fma_f64 v[160:161], v[128:129], v[156:157], -v[160:161]
	v_mul_f64 v[128:129], v[128:129], v[158:159]
	v_fma_f64 v[162:163], v[130:131], v[156:157], v[128:129]
	v_add_co_u32 v156, s0, 0x5000, v180
	v_add_co_ci_u32_e64 v157, s0, 0, v181, s0
	ds_read_b128 v[128:131], v199 offset:2704
	global_load_dwordx4 v[156:159], v[156:157], off offset:1152
	ds_write_b128 v199, v[160:163]
	s_waitcnt vmcnt(0) lgkmcnt(1)
	v_mul_f64 v[160:161], v[130:131], v[158:159]
	v_fma_f64 v[160:161], v[128:129], v[156:157], -v[160:161]
	v_mul_f64 v[128:129], v[128:129], v[158:159]
	v_fma_f64 v[162:163], v[130:131], v[156:157], v[128:129]
	v_add_co_u32 v156, s0, 0x5800, v180
	v_add_co_ci_u32_e64 v157, s0, 0, v181, s0
	ds_read_b128 v[128:131], v199 offset:5408
	global_load_dwordx4 v[156:159], v[156:157], off offset:1808
	ds_write_b128 v199, v[160:163] offset:2704
	s_waitcnt vmcnt(0) lgkmcnt(1)
	v_mul_f64 v[160:161], v[130:131], v[158:159]
	v_fma_f64 v[160:161], v[128:129], v[156:157], -v[160:161]
	v_mul_f64 v[128:129], v[128:129], v[158:159]
	v_fma_f64 v[162:163], v[130:131], v[156:157], v[128:129]
	v_add_co_u32 v156, s0, 0x6800, v180
	v_add_co_ci_u32_e64 v157, s0, 0, v181, s0
	ds_read_b128 v[128:131], v199 offset:8112
	global_load_dwordx4 v[156:159], v[156:157], off offset:416
	ds_write_b128 v199, v[160:163] offset:5408
	;; [unrolled: 10-line block ×5, first 2 shown]
	s_waitcnt vmcnt(0) lgkmcnt(1)
	v_mul_f64 v[160:161], v[130:131], v[158:159]
	v_fma_f64 v[160:161], v[128:129], v[156:157], -v[160:161]
	v_mul_f64 v[128:129], v[128:129], v[158:159]
	v_fma_f64 v[162:163], v[130:131], v[156:157], v[128:129]
	ds_write_b128 v199, v[160:163] offset:16224
	s_and_saveexec_b32 s1, vcc_lo
	s_cbranch_execz .LBB0_9
; %bb.8:
	v_add_co_u32 v168, s0, 0x49f0, v180
	v_add_co_ci_u32_e64 v169, s0, 0, v181, s0
	v_add_co_u32 v156, s0, 0x1000, v168
	v_add_co_ci_u32_e64 v157, s0, 0, v169, s0
	;; [unrolled: 2-line block ×6, first 2 shown]
	v_add_co_u32 v176, s0, 0x4000, v168
	s_clause 0x3
	global_load_dwordx4 v[128:131], v[168:169], off offset:1456
	global_load_dwordx4 v[156:159], v[156:157], off offset:64
	;; [unrolled: 1-line block ×4, first 2 shown]
	v_add_co_ci_u32_e64 v177, s0, 0, v169, s0
	s_clause 0x2
	global_load_dwordx4 v[168:171], v[170:171], off offset:2032
	global_load_dwordx4 v[172:175], v[172:173], off offset:640
	;; [unrolled: 1-line block ×3, first 2 shown]
	ds_read_b128 v[191:194], v199 offset:1456
	ds_read_b128 v[195:198], v199 offset:4160
	;; [unrolled: 1-line block ×7, first 2 shown]
	s_waitcnt vmcnt(6) lgkmcnt(6)
	v_mul_f64 v[225:226], v[193:194], v[130:131]
	v_mul_f64 v[130:131], v[191:192], v[130:131]
	s_waitcnt vmcnt(5) lgkmcnt(5)
	v_mul_f64 v[227:228], v[197:198], v[158:159]
	v_mul_f64 v[158:159], v[195:196], v[158:159]
	;; [unrolled: 3-line block ×7, first 2 shown]
	v_fma_f64 v[191:192], v[191:192], v[128:129], -v[225:226]
	v_fma_f64 v[193:194], v[193:194], v[128:129], v[130:131]
	v_fma_f64 v[128:129], v[195:196], v[156:157], -v[227:228]
	v_fma_f64 v[130:131], v[197:198], v[156:157], v[158:159]
	;; [unrolled: 2-line block ×7, first 2 shown]
	ds_write_b128 v199, v[191:194] offset:1456
	ds_write_b128 v199, v[128:131] offset:4160
	;; [unrolled: 1-line block ×7, first 2 shown]
.LBB0_9:
	s_or_b32 exec_lo, exec_lo, s1
	s_waitcnt lgkmcnt(0)
	s_barrier
	buffer_gl0_inv
	ds_read_b128 v[128:131], v199
	ds_read_b128 v[156:159], v199 offset:2704
	ds_read_b128 v[172:175], v199 offset:5408
	;; [unrolled: 1-line block ×6, first 2 shown]
	s_and_saveexec_b32 s0, vcc_lo
	s_cbranch_execz .LBB0_11
; %bb.10:
	v_lshl_add_u32 v52, v200, 4, v201
	ds_read_b128 v[152:155], v199 offset:1456
	ds_read_b128 v[148:151], v52 offset:4160
	;; [unrolled: 1-line block ×7, first 2 shown]
.LBB0_11:
	s_or_b32 exec_lo, exec_lo, s0
	s_waitcnt lgkmcnt(0)
	v_add_f64 v[191:192], v[156:157], v[168:169]
	v_add_f64 v[193:194], v[158:159], v[170:171]
	;; [unrolled: 1-line block ×4, first 2 shown]
	v_add_f64 v[172:173], v[172:173], -v[176:177]
	v_add_f64 v[174:175], v[174:175], -v[178:179]
	v_add_f64 v[176:177], v[160:161], v[164:165]
	v_add_f64 v[178:179], v[162:163], v[166:167]
	v_add_f64 v[160:161], v[164:165], -v[160:161]
	v_add_f64 v[162:163], v[166:167], -v[162:163]
	;; [unrolled: 1-line block ×4, first 2 shown]
	s_mov_b32 s6, 0x37e14327
	s_mov_b32 s14, 0xe976ee23
	;; [unrolled: 1-line block ×12, first 2 shown]
	v_add_f64 v[164:165], v[195:196], v[191:192]
	v_add_f64 v[166:167], v[197:198], v[193:194]
	s_mov_b32 s21, 0xbfd5d0dc
	s_mov_b32 s17, 0x3fe77f67
	v_add_f64 v[168:169], v[191:192], -v[176:177]
	v_add_f64 v[170:171], v[193:194], -v[178:179]
	;; [unrolled: 1-line block ×6, first 2 shown]
	v_add_f64 v[172:173], v[160:161], v[172:173]
	v_add_f64 v[174:175], v[162:163], v[174:175]
	v_add_f64 v[160:161], v[156:157], -v[160:161]
	v_add_f64 v[162:163], v[158:159], -v[162:163]
	;; [unrolled: 1-line block ×4, first 2 shown]
	s_mov_b32 s19, 0xbfe77f67
	s_mov_b32 s23, 0x3fd5d0dc
	;; [unrolled: 1-line block ×6, first 2 shown]
	v_add_f64 v[164:165], v[176:177], v[164:165]
	v_add_f64 v[166:167], v[178:179], v[166:167]
	v_add_f64 v[176:177], v[176:177], -v[195:196]
	v_add_f64 v[178:179], v[178:179], -v[197:198]
	v_mul_f64 v[168:169], v[168:169], s[6:7]
	v_mul_f64 v[170:171], v[170:171], s[6:7]
	;; [unrolled: 1-line block ×6, first 2 shown]
	v_add_f64 v[156:157], v[172:173], v[156:157]
	v_add_f64 v[158:159], v[174:175], v[158:159]
	s_barrier
	buffer_gl0_inv
	v_add_f64 v[128:129], v[128:129], v[164:165]
	v_add_f64 v[130:131], v[130:131], v[166:167]
	v_mul_f64 v[195:196], v[176:177], s[4:5]
	v_mul_f64 v[197:198], v[178:179], s[4:5]
	v_fma_f64 v[172:173], v[176:177], s[4:5], v[168:169]
	v_fma_f64 v[174:175], v[178:179], s[4:5], v[170:171]
	;; [unrolled: 1-line block ×4, first 2 shown]
	v_fma_f64 v[205:206], v[209:210], s[0:1], -v[205:206]
	v_fma_f64 v[207:208], v[211:212], s[0:1], -v[207:208]
	;; [unrolled: 1-line block ×6, first 2 shown]
	v_fma_f64 v[164:165], v[164:165], s[12:13], v[128:129]
	v_fma_f64 v[166:167], v[166:167], s[12:13], v[130:131]
	v_fma_f64 v[191:192], v[191:192], s[16:17], -v[195:196]
	v_fma_f64 v[193:194], v[193:194], s[16:17], -v[197:198]
	v_fma_f64 v[195:196], v[156:157], s[24:25], v[176:177]
	v_fma_f64 v[176:177], v[158:159], s[24:25], v[178:179]
	;; [unrolled: 1-line block ×6, first 2 shown]
	v_add_f64 v[209:210], v[172:173], v[164:165]
	v_add_f64 v[211:212], v[174:175], v[166:167]
	;; [unrolled: 1-line block ×7, first 2 shown]
	v_add_f64 v[158:159], v[211:212], -v[195:196]
	v_add_f64 v[160:161], v[172:173], v[207:208]
	v_add_f64 v[162:163], v[174:175], -v[205:206]
	v_add_f64 v[164:165], v[168:169], -v[197:198]
	v_add_f64 v[166:167], v[178:179], v[170:171]
	v_add_f64 v[168:169], v[168:169], v[197:198]
	v_add_f64 v[170:171], v[170:171], -v[178:179]
	v_add_f64 v[172:173], v[172:173], -v[207:208]
	v_add_f64 v[174:175], v[205:206], v[174:175]
	v_add_f64 v[176:177], v[209:210], -v[176:177]
	v_add_f64 v[178:179], v[195:196], v[211:212]
	ds_write_b128 v203, v[128:131]
	ds_write_b128 v203, v[156:159] offset:16
	ds_write_b128 v203, v[160:163] offset:32
	;; [unrolled: 1-line block ×6, first 2 shown]
	s_and_saveexec_b32 s26, vcc_lo
	s_cbranch_execz .LBB0_13
; %bb.12:
	v_add_f64 v[128:129], v[150:151], v[54:55]
	v_add_f64 v[130:131], v[146:147], v[134:135]
	;; [unrolled: 1-line block ×4, first 2 shown]
	v_add_f64 v[160:161], v[136:137], -v[140:141]
	v_add_f64 v[132:133], v[144:145], -v[132:133]
	v_add_f64 v[144:145], v[142:143], v[138:139]
	v_add_f64 v[136:137], v[140:141], v[136:137]
	v_add_f64 v[140:141], v[148:149], -v[52:53]
	v_add_f64 v[138:139], v[138:139], -v[142:143]
	;; [unrolled: 1-line block ×4, first 2 shown]
	v_add_f64 v[52:53], v[130:131], v[128:129]
	v_add_f64 v[54:55], v[158:159], v[156:157]
	v_add_f64 v[146:147], v[160:161], -v[132:133]
	v_add_f64 v[148:149], v[128:129], -v[144:145]
	;; [unrolled: 1-line block ×5, first 2 shown]
	v_add_f64 v[132:133], v[160:161], v[132:133]
	v_add_f64 v[166:167], v[134:135], -v[142:143]
	v_add_f64 v[128:129], v[130:131], -v[128:129]
	v_add_f64 v[164:165], v[144:145], v[52:53]
	v_add_f64 v[144:145], v[144:145], -v[130:131]
	v_add_f64 v[52:53], v[138:139], -v[134:135]
	v_add_f64 v[168:169], v[136:137], v[54:55]
	v_add_f64 v[136:137], v[136:137], -v[158:159]
	v_add_f64 v[134:135], v[138:139], v[134:135]
	v_mul_f64 v[146:147], v[146:147], s[14:15]
	v_mul_f64 v[148:149], v[148:149], s[6:7]
	;; [unrolled: 1-line block ×4, first 2 shown]
	v_add_f64 v[138:139], v[142:143], -v[138:139]
	v_mul_f64 v[172:173], v[166:167], s[0:1]
	v_add_f64 v[132:133], v[132:133], v[140:141]
	v_add_f64 v[54:55], v[154:155], v[164:165]
	v_mul_f64 v[130:131], v[144:145], s[4:5]
	v_mul_f64 v[154:155], v[52:53], s[14:15]
	v_add_f64 v[52:53], v[152:153], v[168:169]
	v_add_f64 v[152:153], v[158:159], -v[156:157]
	v_mul_f64 v[156:157], v[136:137], s[4:5]
	v_add_f64 v[134:135], v[134:135], v[142:143]
	v_fma_f64 v[140:141], v[170:171], s[20:21], v[146:147]
	v_fma_f64 v[142:143], v[144:145], s[4:5], v[148:149]
	;; [unrolled: 1-line block ×3, first 2 shown]
	v_fma_f64 v[144:145], v[170:171], s[22:23], -v[160:161]
	v_fma_f64 v[146:147], v[162:163], s[0:1], -v[146:147]
	;; [unrolled: 1-line block ×3, first 2 shown]
	v_fma_f64 v[158:159], v[164:165], s[12:13], v[54:55]
	v_fma_f64 v[128:129], v[128:129], s[16:17], -v[130:131]
	v_fma_f64 v[130:131], v[138:139], s[20:21], v[154:155]
	v_fma_f64 v[160:161], v[168:169], s[12:13], v[52:53]
	v_fma_f64 v[138:139], v[138:139], s[22:23], -v[172:173]
	v_fma_f64 v[150:151], v[152:153], s[18:19], -v[150:151]
	;; [unrolled: 1-line block ×4, first 2 shown]
	v_fma_f64 v[140:141], v[132:133], s[24:25], v[140:141]
	v_fma_f64 v[144:145], v[132:133], s[24:25], v[144:145]
	;; [unrolled: 1-line block ×3, first 2 shown]
	v_add_f64 v[156:157], v[142:143], v[158:159]
	v_add_f64 v[146:147], v[148:149], v[158:159]
	;; [unrolled: 1-line block ×3, first 2 shown]
	v_fma_f64 v[158:159], v[134:135], s[24:25], v[130:131]
	v_add_f64 v[164:165], v[136:137], v[160:161]
	v_fma_f64 v[162:163], v[134:135], s[24:25], v[138:139]
	v_add_f64 v[166:167], v[150:151], v[160:161]
	;; [unrolled: 2-line block ×3, first 2 shown]
	v_lshl_add_u32 v152, v202, 4, v201
	v_add_f64 v[150:151], v[156:157], -v[140:141]
	v_add_f64 v[134:135], v[144:145], v[146:147]
	v_add_f64 v[146:147], v[146:147], -v[144:145]
	v_add_f64 v[130:131], v[140:141], v[156:157]
	v_add_f64 v[148:149], v[164:165], v[158:159]
	v_add_f64 v[142:143], v[132:133], v[128:129]
	v_add_f64 v[144:145], v[166:167], v[162:163]
	v_add_f64 v[138:139], v[128:129], -v[132:133]
	v_add_f64 v[140:141], v[136:137], -v[154:155]
	v_add_f64 v[136:137], v[136:137], v[154:155]
	v_add_f64 v[132:133], v[166:167], -v[162:163]
	v_add_f64 v[128:129], v[164:165], -v[158:159]
	ds_write_b128 v152, v[52:55]
	ds_write_b128 v152, v[148:151] offset:16
	ds_write_b128 v152, v[144:147] offset:32
	ds_write_b128 v152, v[140:143] offset:48
	ds_write_b128 v152, v[136:139] offset:64
	ds_write_b128 v152, v[132:135] offset:80
	ds_write_b128 v152, v[128:131] offset:96
.LBB0_13:
	s_or_b32 exec_lo, exec_lo, s26
	v_mad_u64_u32 v[128:129], null, s10, v190, 0
	s_waitcnt lgkmcnt(0)
	s_barrier
	buffer_gl0_inv
	s_mov_b32 s26, 0x4267c47c
	s_mov_b32 s18, 0x42a4c3d2
	;; [unrolled: 1-line block ×3, first 2 shown]
	v_mov_b32_e32 v52, v129
	s_mov_b32 s28, 0x24c2f84
	s_mov_b32 s36, 0x4bc48dbf
	;; [unrolled: 1-line block ×4, first 2 shown]
	v_mad_u64_u32 v[52:53], null, s11, v190, v[52:53]
	s_mov_b32 s10, 0x2ef20147
	s_mov_b32 s7, 0xbfefc445
	s_mov_b32 s11, 0xbfedeba7
	s_mov_b32 s29, 0xbfe5384d
	s_mov_b32 s37, 0xbfcea1e5
	s_mov_b32 s22, 0xe00740e9
	v_mov_b32_e32 v129, v52
	ds_read_b128 v[52:55], v199
	ds_read_b128 v[130:133], v199 offset:1456
	ds_read_b128 v[134:137], v199 offset:2912
	;; [unrolled: 1-line block ×12, first 2 shown]
	s_mov_b32 s12, 0x1ea71119
	s_mov_b32 s4, 0xebaa3ed8
	;; [unrolled: 1-line block ×8, first 2 shown]
	s_waitcnt lgkmcnt(11)
	v_mul_f64 v[138:139], v[58:59], v[132:133]
	v_mul_f64 v[58:59], v[58:59], v[130:131]
	s_mov_b32 s17, 0xbfd6b1d8
	s_mov_b32 s31, 0xbfe7f3cc
	;; [unrolled: 1-line block ×15, first 2 shown]
	s_waitcnt lgkmcnt(0)
	s_barrier
	buffer_gl0_inv
	v_fma_f64 v[178:179], v[56:57], v[130:131], v[138:139]
	v_fma_f64 v[194:195], v[56:57], v[132:133], -v[58:59]
	v_mul_f64 v[56:57], v[38:39], v[136:137]
	v_mul_f64 v[38:39], v[38:39], v[134:135]
	v_fma_f64 v[140:141], v[36:37], v[134:135], v[56:57]
	v_fma_f64 v[138:139], v[36:37], v[136:137], -v[38:39]
	v_mul_f64 v[36:37], v[34:35], v[144:145]
	v_mul_f64 v[34:35], v[34:35], v[142:143]
	;; [unrolled: 4-line block ×3, first 2 shown]
	v_fma_f64 v[132:133], v[28:29], v[146:147], v[32:33]
	v_fma_f64 v[130:131], v[28:29], v[148:149], -v[30:31]
	v_mul_f64 v[28:29], v[62:63], v[152:153]
	v_add_f64 v[30:31], v[54:55], v[194:195]
	v_fma_f64 v[58:59], v[60:61], v[150:151], v[28:29]
	v_mul_f64 v[28:29], v[62:63], v[150:151]
	v_add_f64 v[30:31], v[30:31], v[138:139]
	v_fma_f64 v[56:57], v[60:61], v[152:153], -v[28:29]
	v_mul_f64 v[28:29], v[50:51], v[156:157]
	v_add_f64 v[30:31], v[30:31], v[134:135]
	v_fma_f64 v[36:37], v[48:49], v[154:155], v[28:29]
	v_mul_f64 v[28:29], v[50:51], v[154:155]
	v_add_f64 v[30:31], v[30:31], v[130:131]
	;; [unrolled: 6-line block ×3, first 2 shown]
	v_fma_f64 v[34:35], v[44:45], v[160:161], -v[28:29]
	v_mul_f64 v[28:29], v[42:43], v[164:165]
	v_add_f64 v[30:31], v[30:31], v[34:35]
	v_fma_f64 v[44:45], v[40:41], v[162:163], v[28:29]
	v_mul_f64 v[28:29], v[42:43], v[162:163]
	v_fma_f64 v[40:41], v[40:41], v[164:165], -v[28:29]
	v_mul_f64 v[28:29], v[78:79], v[168:169]
	v_add_f64 v[30:31], v[30:31], v[40:41]
	v_fma_f64 v[46:47], v[76:77], v[166:167], v[28:29]
	v_mul_f64 v[28:29], v[78:79], v[166:167]
	;; [unrolled: 5-line block ×5, first 2 shown]
	v_add_f64 v[74:75], v[178:179], v[68:69]
	v_fma_f64 v[66:67], v[64:65], v[192:193], -v[28:29]
	v_add_f64 v[28:29], v[52:53], v[178:179]
	v_add_f64 v[64:65], v[178:179], -v[68:69]
	v_add_f64 v[78:79], v[194:195], -v[66:67]
	v_add_f64 v[28:29], v[28:29], v[140:141]
	v_add_f64 v[76:77], v[194:195], v[66:67]
	;; [unrolled: 1-line block ×3, first 2 shown]
	v_mul_f64 v[142:143], v[78:79], s[18:19]
	v_add_f64 v[28:29], v[28:29], v[136:137]
	v_mul_f64 v[150:151], v[78:79], s[6:7]
	v_mul_f64 v[158:159], v[78:79], s[10:11]
	;; [unrolled: 1-line block ×9, first 2 shown]
	v_fma_f64 v[144:145], v[74:75], s[12:13], v[142:143]
	v_add_f64 v[28:29], v[28:29], v[132:133]
	v_fma_f64 v[142:143], v[74:75], s[12:13], -v[142:143]
	v_fma_f64 v[152:153], v[74:75], s[4:5], v[150:151]
	v_fma_f64 v[150:151], v[74:75], s[4:5], -v[150:151]
	v_fma_f64 v[160:161], v[74:75], s[16:17], v[158:159]
	;; [unrolled: 2-line block ×4, first 2 shown]
	v_fma_f64 v[146:147], v[64:65], s[18:19], v[146:147]
	v_fma_f64 v[156:157], v[64:65], s[0:1], v[154:155]
	;; [unrolled: 1-line block ×8, first 2 shown]
	v_add_f64 v[144:145], v[52:53], v[144:145]
	v_add_f64 v[28:29], v[28:29], v[58:59]
	;; [unrolled: 1-line block ×25, first 2 shown]
	v_mul_f64 v[68:69], v[78:79], s[26:27]
	v_mul_f64 v[78:79], v[78:79], s[36:37]
	v_fma_f64 v[66:67], v[74:75], s[22:23], v[68:69]
	v_fma_f64 v[68:69], v[74:75], s[22:23], -v[68:69]
	v_fma_f64 v[174:175], v[74:75], s[38:39], v[78:79]
	v_fma_f64 v[74:75], v[74:75], s[38:39], -v[78:79]
	v_add_f64 v[72:73], v[52:53], v[66:67]
	v_fma_f64 v[66:67], v[64:65], s[24:25], v[70:71]
	v_add_f64 v[68:69], v[52:53], v[68:69]
	v_fma_f64 v[70:71], v[64:65], s[26:27], v[70:71]
	v_add_f64 v[174:175], v[52:53], v[174:175]
	v_add_f64 v[52:53], v[52:53], v[74:75]
	v_fma_f64 v[64:65], v[64:65], s[36:37], v[76:77]
	v_add_f64 v[74:75], v[138:139], v[60:61]
	v_add_f64 v[60:61], v[138:139], -v[60:61]
	v_add_f64 v[66:67], v[54:55], v[66:67]
	v_add_f64 v[70:71], v[54:55], v[70:71]
	;; [unrolled: 1-line block ×4, first 2 shown]
	v_mul_f64 v[76:77], v[60:61], s[18:19]
	v_add_f64 v[62:63], v[140:141], -v[62:63]
	v_fma_f64 v[78:79], v[64:65], s[12:13], v[76:77]
	v_fma_f64 v[76:77], v[64:65], s[12:13], -v[76:77]
	v_add_f64 v[72:73], v[78:79], v[72:73]
	v_mul_f64 v[78:79], v[74:75], s[12:13]
	v_add_f64 v[68:69], v[76:77], v[68:69]
	v_fma_f64 v[76:77], v[62:63], s[18:19], v[78:79]
	v_fma_f64 v[138:139], v[62:63], s[14:15], v[78:79]
	v_add_f64 v[70:71], v[76:77], v[70:71]
	v_mul_f64 v[76:77], v[60:61], s[10:11]
	v_add_f64 v[66:67], v[138:139], v[66:67]
	v_mul_f64 v[138:139], v[74:75], s[16:17]
	v_fma_f64 v[78:79], v[64:65], s[16:17], v[76:77]
	v_fma_f64 v[76:77], v[64:65], s[16:17], -v[76:77]
	v_fma_f64 v[140:141], v[62:63], s[20:21], v[138:139]
	v_fma_f64 v[138:139], v[62:63], s[10:11], v[138:139]
	v_add_f64 v[78:79], v[78:79], v[144:145]
	v_add_f64 v[76:77], v[76:77], v[142:143]
	v_mul_f64 v[142:143], v[60:61], s[36:37]
	v_add_f64 v[138:139], v[138:139], v[146:147]
	v_mul_f64 v[146:147], v[74:75], s[38:39]
	v_add_f64 v[140:141], v[140:141], v[148:149]
	v_fma_f64 v[144:145], v[64:65], s[38:39], v[142:143]
	v_fma_f64 v[142:143], v[64:65], s[38:39], -v[142:143]
	v_fma_f64 v[148:149], v[62:63], s[40:41], v[146:147]
	v_fma_f64 v[146:147], v[62:63], s[36:37], v[146:147]
	v_add_f64 v[144:145], v[144:145], v[152:153]
	v_add_f64 v[142:143], v[142:143], v[150:151]
	v_mul_f64 v[150:151], v[60:61], s[34:35]
	v_add_f64 v[146:147], v[146:147], v[154:155]
	v_mul_f64 v[154:155], v[74:75], s[30:31]
	v_add_f64 v[148:149], v[148:149], v[156:157]
	v_fma_f64 v[152:153], v[64:65], s[30:31], v[150:151]
	v_fma_f64 v[150:151], v[64:65], s[30:31], -v[150:151]
	v_fma_f64 v[156:157], v[62:63], s[28:29], v[154:155]
	v_fma_f64 v[154:155], v[62:63], s[34:35], v[154:155]
	v_add_f64 v[152:153], v[152:153], v[160:161]
	v_add_f64 v[150:151], v[150:151], v[158:159]
	v_mul_f64 v[158:159], v[60:61], s[0:1]
	v_mul_f64 v[60:61], v[60:61], s[24:25]
	v_add_f64 v[154:155], v[154:155], v[162:163]
	v_mul_f64 v[162:163], v[74:75], s[4:5]
	v_mul_f64 v[74:75], v[74:75], s[22:23]
	v_add_f64 v[156:157], v[156:157], v[164:165]
	v_fma_f64 v[160:161], v[64:65], s[4:5], v[158:159]
	v_fma_f64 v[158:159], v[64:65], s[4:5], -v[158:159]
	v_fma_f64 v[164:165], v[62:63], s[6:7], v[162:163]
	v_fma_f64 v[162:163], v[62:63], s[0:1], v[162:163]
	v_add_f64 v[160:161], v[160:161], v[168:169]
	v_add_f64 v[158:159], v[158:159], v[166:167]
	v_fma_f64 v[166:167], v[64:65], s[22:23], v[60:61]
	v_fma_f64 v[60:61], v[64:65], s[22:23], -v[60:61]
	v_fma_f64 v[168:169], v[62:63], s[26:27], v[74:75]
	v_add_f64 v[162:163], v[162:163], v[170:171]
	v_add_f64 v[164:165], v[164:165], v[172:173]
	;; [unrolled: 1-line block ×4, first 2 shown]
	v_fma_f64 v[60:61], v[62:63], s[24:25], v[74:75]
	v_add_f64 v[62:63], v[134:135], v[48:49]
	v_add_f64 v[48:49], v[134:135], -v[48:49]
	v_add_f64 v[168:169], v[168:169], v[176:177]
	v_add_f64 v[54:55], v[60:61], v[54:55]
	;; [unrolled: 1-line block ×3, first 2 shown]
	v_mul_f64 v[64:65], v[48:49], s[6:7]
	v_add_f64 v[50:51], v[136:137], -v[50:51]
	v_fma_f64 v[74:75], v[60:61], s[4:5], v[64:65]
	v_fma_f64 v[64:65], v[60:61], s[4:5], -v[64:65]
	v_add_f64 v[72:73], v[74:75], v[72:73]
	v_mul_f64 v[74:75], v[62:63], s[4:5]
	v_add_f64 v[64:65], v[64:65], v[68:69]
	v_fma_f64 v[68:69], v[50:51], s[6:7], v[74:75]
	v_fma_f64 v[134:135], v[50:51], s[0:1], v[74:75]
	v_add_f64 v[68:69], v[68:69], v[70:71]
	v_mul_f64 v[70:71], v[48:49], s[36:37]
	v_add_f64 v[66:67], v[134:135], v[66:67]
	v_fma_f64 v[74:75], v[60:61], s[38:39], v[70:71]
	v_fma_f64 v[70:71], v[60:61], s[38:39], -v[70:71]
	v_add_f64 v[74:75], v[74:75], v[78:79]
	v_mul_f64 v[78:79], v[62:63], s[38:39]
	v_add_f64 v[70:71], v[70:71], v[76:77]
	v_fma_f64 v[134:135], v[50:51], s[40:41], v[78:79]
	v_fma_f64 v[76:77], v[50:51], s[36:37], v[78:79]
	v_mul_f64 v[78:79], v[48:49], s[20:21]
	v_add_f64 v[134:135], v[134:135], v[140:141]
	v_add_f64 v[76:77], v[76:77], v[138:139]
	v_fma_f64 v[136:137], v[60:61], s[16:17], v[78:79]
	v_mul_f64 v[138:139], v[62:63], s[16:17]
	v_fma_f64 v[78:79], v[60:61], s[16:17], -v[78:79]
	v_add_f64 v[136:137], v[136:137], v[144:145]
	v_fma_f64 v[140:141], v[50:51], s[10:11], v[138:139]
	v_add_f64 v[78:79], v[78:79], v[142:143]
	v_fma_f64 v[138:139], v[50:51], s[20:21], v[138:139]
	v_mul_f64 v[142:143], v[48:49], s[24:25]
	v_add_f64 v[140:141], v[140:141], v[148:149]
	v_add_f64 v[138:139], v[138:139], v[146:147]
	v_fma_f64 v[144:145], v[60:61], s[22:23], v[142:143]
	v_mul_f64 v[146:147], v[62:63], s[22:23]
	v_fma_f64 v[142:143], v[60:61], s[22:23], -v[142:143]
	v_add_f64 v[144:145], v[144:145], v[152:153]
	v_fma_f64 v[148:149], v[50:51], s[26:27], v[146:147]
	v_add_f64 v[142:143], v[142:143], v[150:151]
	v_fma_f64 v[146:147], v[50:51], s[24:25], v[146:147]
	v_mul_f64 v[150:151], v[48:49], s[18:19]
	v_mul_f64 v[48:49], v[48:49], s[28:29]
	v_add_f64 v[148:149], v[148:149], v[156:157]
	v_add_f64 v[146:147], v[146:147], v[154:155]
	v_fma_f64 v[152:153], v[60:61], s[12:13], v[150:151]
	v_mul_f64 v[154:155], v[62:63], s[12:13]
	v_mul_f64 v[62:63], v[62:63], s[30:31]
	v_fma_f64 v[150:151], v[60:61], s[12:13], -v[150:151]
	v_add_f64 v[152:153], v[152:153], v[160:161]
	v_fma_f64 v[156:157], v[50:51], s[14:15], v[154:155]
	v_fma_f64 v[154:155], v[50:51], s[18:19], v[154:155]
	;; [unrolled: 1-line block ×4, first 2 shown]
	v_add_f64 v[150:151], v[150:151], v[158:159]
	v_fma_f64 v[158:159], v[60:61], s[30:31], v[48:49]
	v_fma_f64 v[48:49], v[60:61], s[30:31], -v[48:49]
	v_add_f64 v[156:157], v[156:157], v[164:165]
	v_add_f64 v[154:155], v[154:155], v[162:163]
	;; [unrolled: 1-line block ×5, first 2 shown]
	v_add_f64 v[42:43], v[130:131], -v[42:43]
	v_add_f64 v[48:49], v[48:49], v[52:53]
	v_add_f64 v[52:53], v[132:133], v[46:47]
	v_add_f64 v[46:47], v[132:133], -v[46:47]
	v_add_f64 v[158:159], v[158:159], v[166:167]
	v_mul_f64 v[132:133], v[54:55], s[22:23]
	v_mul_f64 v[60:61], v[42:43], s[10:11]
	v_fma_f64 v[62:63], v[52:53], s[16:17], v[60:61]
	v_fma_f64 v[60:61], v[52:53], s[16:17], -v[60:61]
	v_add_f64 v[62:63], v[62:63], v[72:73]
	v_mul_f64 v[72:73], v[54:55], s[16:17]
	v_add_f64 v[60:61], v[60:61], v[64:65]
	v_fma_f64 v[64:65], v[46:47], s[10:11], v[72:73]
	v_fma_f64 v[130:131], v[46:47], s[20:21], v[72:73]
	v_add_f64 v[64:65], v[64:65], v[68:69]
	v_mul_f64 v[68:69], v[42:43], s[34:35]
	v_add_f64 v[66:67], v[130:131], v[66:67]
	v_fma_f64 v[72:73], v[52:53], s[30:31], v[68:69]
	v_fma_f64 v[68:69], v[52:53], s[30:31], -v[68:69]
	v_add_f64 v[72:73], v[72:73], v[74:75]
	v_mul_f64 v[74:75], v[54:55], s[30:31]
	v_add_f64 v[68:69], v[68:69], v[70:71]
	v_fma_f64 v[130:131], v[46:47], s[28:29], v[74:75]
	v_fma_f64 v[70:71], v[46:47], s[34:35], v[74:75]
	v_mul_f64 v[74:75], v[42:43], s[24:25]
	v_add_f64 v[130:131], v[130:131], v[134:135]
	v_add_f64 v[70:71], v[70:71], v[76:77]
	v_fma_f64 v[76:77], v[52:53], s[22:23], v[74:75]
	v_fma_f64 v[74:75], v[52:53], s[22:23], -v[74:75]
	v_fma_f64 v[134:135], v[46:47], s[26:27], v[132:133]
	v_add_f64 v[76:77], v[76:77], v[136:137]
	v_add_f64 v[74:75], v[74:75], v[78:79]
	v_fma_f64 v[78:79], v[46:47], s[24:25], v[132:133]
	v_mul_f64 v[132:133], v[42:43], s[6:7]
	v_add_f64 v[134:135], v[134:135], v[140:141]
	v_add_f64 v[78:79], v[78:79], v[138:139]
	v_fma_f64 v[136:137], v[52:53], s[4:5], v[132:133]
	v_fma_f64 v[132:133], v[52:53], s[4:5], -v[132:133]
	v_add_f64 v[138:139], v[136:137], v[144:145]
	v_mul_f64 v[136:137], v[54:55], s[4:5]
	v_add_f64 v[142:143], v[132:133], v[142:143]
	v_fma_f64 v[132:133], v[46:47], s[6:7], v[136:137]
	v_fma_f64 v[140:141], v[46:47], s[0:1], v[136:137]
	v_add_f64 v[144:145], v[132:133], v[146:147]
	v_mul_f64 v[132:133], v[42:43], s[40:41]
	v_mul_f64 v[42:43], v[42:43], s[14:15]
	v_add_f64 v[140:141], v[140:141], v[148:149]
	v_fma_f64 v[136:137], v[52:53], s[38:39], v[132:133]
	v_fma_f64 v[132:133], v[52:53], s[38:39], -v[132:133]
	v_add_f64 v[146:147], v[136:137], v[152:153]
	v_mul_f64 v[136:137], v[54:55], s[38:39]
	v_add_f64 v[150:151], v[132:133], v[150:151]
	v_mul_f64 v[54:55], v[54:55], s[12:13]
	v_fma_f64 v[132:133], v[46:47], s[40:41], v[136:137]
	v_fma_f64 v[148:149], v[46:47], s[36:37], v[136:137]
	v_add_f64 v[152:153], v[132:133], v[154:155]
	v_fma_f64 v[132:133], v[52:53], s[12:13], v[42:43]
	v_fma_f64 v[42:43], v[52:53], s[12:13], -v[42:43]
	v_add_f64 v[148:149], v[148:149], v[156:157]
	v_add_f64 v[154:155], v[132:133], v[158:159]
	v_fma_f64 v[132:133], v[46:47], s[18:19], v[54:55]
	v_fma_f64 v[46:47], v[46:47], s[14:15], v[54:55]
	v_add_f64 v[42:43], v[42:43], v[48:49]
	v_add_f64 v[48:49], v[58:59], v[44:45]
	v_add_f64 v[44:45], v[58:59], -v[44:45]
	v_add_f64 v[156:157], v[132:133], v[160:161]
	v_add_f64 v[46:47], v[46:47], v[50:51]
	;; [unrolled: 1-line block ×3, first 2 shown]
	v_add_f64 v[40:41], v[56:57], -v[40:41]
	v_mul_f64 v[52:53], v[40:41], s[28:29]
	v_fma_f64 v[54:55], v[48:49], s[30:31], v[52:53]
	v_fma_f64 v[52:53], v[48:49], s[30:31], -v[52:53]
	v_add_f64 v[158:159], v[54:55], v[62:63]
	v_mul_f64 v[54:55], v[50:51], s[30:31]
	v_add_f64 v[162:163], v[52:53], v[60:61]
	v_add_f64 v[60:61], v[32:33], v[34:35]
	v_fma_f64 v[52:53], v[44:45], s[28:29], v[54:55]
	v_fma_f64 v[56:57], v[44:45], s[34:35], v[54:55]
	v_add_f64 v[164:165], v[52:53], v[64:65]
	v_mul_f64 v[52:53], v[40:41], s[0:1]
	v_add_f64 v[160:161], v[56:57], v[66:67]
	v_fma_f64 v[54:55], v[48:49], s[4:5], v[52:53]
	v_fma_f64 v[52:53], v[48:49], s[4:5], -v[52:53]
	v_add_f64 v[166:167], v[54:55], v[72:73]
	v_mul_f64 v[54:55], v[50:51], s[4:5]
	v_add_f64 v[170:171], v[52:53], v[68:69]
	v_fma_f64 v[52:53], v[44:45], s[0:1], v[54:55]
	v_fma_f64 v[56:57], v[44:45], s[6:7], v[54:55]
	v_add_f64 v[172:173], v[52:53], v[70:71]
	v_mul_f64 v[52:53], v[40:41], s[18:19]
	v_add_f64 v[168:169], v[56:57], v[130:131]
	v_fma_f64 v[54:55], v[48:49], s[12:13], v[52:53]
	v_fma_f64 v[52:53], v[48:49], s[12:13], -v[52:53]
	v_add_f64 v[136:137], v[54:55], v[76:77]
	v_mul_f64 v[54:55], v[50:51], s[12:13]
	v_add_f64 v[132:133], v[52:53], v[74:75]
	v_fma_f64 v[52:53], v[44:45], s[18:19], v[54:55]
	v_fma_f64 v[56:57], v[44:45], s[14:15], v[54:55]
	v_add_f64 v[130:131], v[52:53], v[78:79]
	v_mul_f64 v[52:53], v[40:41], s[40:41]
	v_add_f64 v[134:135], v[56:57], v[134:135]
	v_add_f64 v[78:79], v[32:33], -v[34:35]
	v_fma_f64 v[54:55], v[48:49], s[38:39], v[52:53]
	v_fma_f64 v[52:53], v[48:49], s[38:39], -v[52:53]
	v_mul_f64 v[32:33], v[78:79], s[36:37]
	v_add_f64 v[76:77], v[54:55], v[138:139]
	v_mul_f64 v[54:55], v[50:51], s[38:39]
	v_add_f64 v[72:73], v[52:53], v[142:143]
	v_mul_f64 v[142:143], v[60:61], s[30:31]
	v_fma_f64 v[52:53], v[44:45], s[40:41], v[54:55]
	v_fma_f64 v[56:57], v[44:45], s[36:37], v[54:55]
	v_add_f64 v[70:71], v[52:53], v[144:145]
	v_mul_f64 v[52:53], v[40:41], s[24:25]
	v_mul_f64 v[40:41], v[40:41], s[10:11]
	v_add_f64 v[74:75], v[56:57], v[140:141]
	v_mul_f64 v[140:141], v[78:79], s[28:29]
	v_fma_f64 v[54:55], v[48:49], s[22:23], v[52:53]
	v_fma_f64 v[52:53], v[48:49], s[22:23], -v[52:53]
	v_add_f64 v[68:69], v[54:55], v[146:147]
	v_mul_f64 v[54:55], v[50:51], s[22:23]
	v_add_f64 v[64:65], v[52:53], v[150:151]
	v_mul_f64 v[50:51], v[50:51], s[16:17]
	v_fma_f64 v[52:53], v[44:45], s[24:25], v[54:55]
	v_fma_f64 v[56:57], v[44:45], s[26:27], v[54:55]
	v_add_f64 v[54:55], v[36:37], v[38:39]
	v_add_f64 v[62:63], v[52:53], v[152:153]
	v_fma_f64 v[52:53], v[48:49], s[16:17], v[40:41]
	v_fma_f64 v[40:41], v[48:49], s[16:17], -v[40:41]
	v_add_f64 v[66:67], v[56:57], v[148:149]
	v_fma_f64 v[138:139], v[54:55], s[30:31], v[140:141]
	v_fma_f64 v[34:35], v[54:55], s[38:39], v[32:33]
	v_fma_f64 v[32:33], v[54:55], s[38:39], -v[32:33]
	v_add_f64 v[58:59], v[52:53], v[154:155]
	v_fma_f64 v[52:53], v[44:45], s[20:21], v[50:51]
	v_add_f64 v[136:137], v[138:139], v[136:137]
	v_add_f64 v[32:33], v[32:33], v[162:163]
	;; [unrolled: 1-line block ×4, first 2 shown]
	v_fma_f64 v[40:41], v[44:45], s[10:11], v[50:51]
	v_add_f64 v[50:51], v[36:37], -v[38:39]
	v_add_f64 v[36:37], v[34:35], v[158:159]
	v_mul_f64 v[34:35], v[60:61], s[38:39]
	v_add_f64 v[48:49], v[40:41], v[46:47]
	v_fma_f64 v[138:139], v[50:51], s[34:35], v[142:143]
	v_mul_f64 v[40:41], v[78:79], s[24:25]
	v_fma_f64 v[38:39], v[50:51], s[40:41], v[34:35]
	v_fma_f64 v[34:35], v[50:51], s[36:37], v[34:35]
	v_add_f64 v[138:139], v[138:139], v[134:135]
	v_fma_f64 v[134:135], v[54:55], s[30:31], -v[140:141]
	v_fma_f64 v[42:43], v[54:55], s[22:23], v[40:41]
	v_fma_f64 v[40:41], v[54:55], s[22:23], -v[40:41]
	v_add_f64 v[38:39], v[38:39], v[160:161]
	v_add_f64 v[34:35], v[34:35], v[164:165]
	;; [unrolled: 1-line block ×3, first 2 shown]
	v_fma_f64 v[134:135], v[50:51], s[28:29], v[142:143]
	v_add_f64 v[44:45], v[42:43], v[166:167]
	v_mul_f64 v[42:43], v[60:61], s[22:23]
	v_add_f64 v[40:41], v[40:41], v[170:171]
	v_add_f64 v[134:135], v[134:135], v[130:131]
	v_mul_f64 v[130:131], v[78:79], s[14:15]
	v_fma_f64 v[46:47], v[50:51], s[26:27], v[42:43]
	v_fma_f64 v[42:43], v[50:51], s[24:25], v[42:43]
	;; [unrolled: 1-line block ×3, first 2 shown]
	v_add_f64 v[46:47], v[46:47], v[168:169]
	v_add_f64 v[42:43], v[42:43], v[172:173]
	;; [unrolled: 1-line block ×3, first 2 shown]
	v_mul_f64 v[76:77], v[60:61], s[12:13]
	v_fma_f64 v[142:143], v[50:51], s[18:19], v[76:77]
	v_add_f64 v[142:143], v[142:143], v[74:75]
	v_fma_f64 v[74:75], v[54:55], s[12:13], -v[130:131]
	v_mul_f64 v[130:131], v[60:61], s[16:17]
	v_add_f64 v[72:73], v[74:75], v[72:73]
	v_fma_f64 v[74:75], v[50:51], s[14:15], v[76:77]
	v_mul_f64 v[76:77], v[78:79], s[10:11]
	v_add_f64 v[74:75], v[74:75], v[70:71]
	v_fma_f64 v[70:71], v[54:55], s[16:17], v[76:77]
	v_add_f64 v[68:69], v[70:71], v[68:69]
	v_fma_f64 v[70:71], v[50:51], s[20:21], v[130:131]
	v_add_f64 v[70:71], v[70:71], v[66:67]
	v_fma_f64 v[66:67], v[54:55], s[16:17], -v[76:77]
	v_add_f64 v[64:65], v[66:67], v[64:65]
	v_fma_f64 v[66:67], v[50:51], s[10:11], v[130:131]
	v_add_f64 v[66:67], v[66:67], v[62:63]
	v_mul_f64 v[62:63], v[78:79], s[0:1]
	v_fma_f64 v[76:77], v[54:55], s[4:5], v[62:63]
	v_fma_f64 v[54:55], v[54:55], s[4:5], -v[62:63]
	v_add_f64 v[58:59], v[76:77], v[58:59]
	v_mul_f64 v[76:77], v[60:61], s[4:5]
	v_add_f64 v[52:53], v[54:55], v[52:53]
	v_fma_f64 v[60:61], v[50:51], s[6:7], v[76:77]
	v_fma_f64 v[50:51], v[50:51], s[0:1], v[76:77]
	v_add_f64 v[60:61], v[60:61], v[56:57]
	v_add_f64 v[54:55], v[50:51], v[48:49]
	ds_write_b128 v204, v[28:31]
	ds_write_b128 v204, v[36:39] offset:112
	ds_write_b128 v204, v[44:47] offset:224
	ds_write_b128 v204, v[136:139] offset:336
	ds_write_b128 v204, v[140:143] offset:448
	ds_write_b128 v204, v[68:71] offset:560
	ds_write_b128 v204, v[58:61] offset:672
	ds_write_b128 v204, v[52:55] offset:784
	ds_write_b128 v204, v[64:67] offset:896
	ds_write_b128 v204, v[72:75] offset:1008
	ds_write_b128 v204, v[132:135] offset:1120
	ds_write_b128 v204, v[40:43] offset:1232
	ds_write_b128 v204, v[32:35] offset:1344
	s_waitcnt lgkmcnt(0)
	s_barrier
	buffer_gl0_inv
	ds_read_b128 v[32:35], v199
	ds_read_b128 v[28:31], v199 offset:1456
	ds_read_b128 v[36:39], v199 offset:2912
	ds_read_b128 v[40:43], v199 offset:4368
	ds_read_b128 v[44:47], v199 offset:5824
	ds_read_b128 v[72:75], v199 offset:7280
	ds_read_b128 v[76:79], v199 offset:8736
	ds_read_b128 v[130:133], v199 offset:10192
	ds_read_b128 v[134:137], v199 offset:11648
	ds_read_b128 v[138:141], v199 offset:13104
	ds_read_b128 v[142:145], v199 offset:14560
	ds_read_b128 v[146:149], v199 offset:16016
	ds_read_b128 v[150:153], v199 offset:17472
	s_waitcnt lgkmcnt(11)
	v_mul_f64 v[48:49], v[110:111], v[30:31]
	v_fma_f64 v[154:155], v[108:109], v[28:29], v[48:49]
	v_mul_f64 v[28:29], v[110:111], v[28:29]
	v_fma_f64 v[108:109], v[108:109], v[30:31], -v[28:29]
	s_waitcnt lgkmcnt(10)
	v_mul_f64 v[28:29], v[90:91], v[38:39]
	v_add_f64 v[30:31], v[34:35], v[108:109]
	v_fma_f64 v[70:71], v[88:89], v[36:37], v[28:29]
	v_mul_f64 v[28:29], v[90:91], v[36:37]
	v_fma_f64 v[68:69], v[88:89], v[38:39], -v[28:29]
	s_waitcnt lgkmcnt(9)
	v_mul_f64 v[28:29], v[86:87], v[42:43]
	v_add_f64 v[30:31], v[30:31], v[68:69]
	v_fma_f64 v[64:65], v[84:85], v[40:41], v[28:29]
	v_mul_f64 v[28:29], v[86:87], v[40:41]
	v_fma_f64 v[60:61], v[84:85], v[42:43], -v[28:29]
	s_waitcnt lgkmcnt(8)
	v_mul_f64 v[28:29], v[82:83], v[46:47]
	v_add_f64 v[30:31], v[30:31], v[60:61]
	v_fma_f64 v[56:57], v[80:81], v[44:45], v[28:29]
	v_mul_f64 v[28:29], v[82:83], v[44:45]
	v_fma_f64 v[52:53], v[80:81], v[46:47], -v[28:29]
	s_waitcnt lgkmcnt(7)
	v_mul_f64 v[28:29], v[118:119], v[74:75]
	v_add_f64 v[30:31], v[30:31], v[52:53]
	v_fma_f64 v[48:49], v[116:117], v[72:73], v[28:29]
	v_mul_f64 v[28:29], v[118:119], v[72:73]
	v_fma_f64 v[44:45], v[116:117], v[74:75], -v[28:29]
	s_waitcnt lgkmcnt(6)
	v_mul_f64 v[28:29], v[102:103], v[78:79]
	v_add_f64 v[30:31], v[30:31], v[44:45]
	v_fma_f64 v[40:41], v[100:101], v[76:77], v[28:29]
	v_mul_f64 v[28:29], v[102:103], v[76:77]
	v_fma_f64 v[36:37], v[100:101], v[78:79], -v[28:29]
	s_waitcnt lgkmcnt(5)
	v_mul_f64 v[28:29], v[98:99], v[132:133]
	v_add_f64 v[30:31], v[30:31], v[36:37]
	v_fma_f64 v[42:43], v[96:97], v[130:131], v[28:29]
	v_mul_f64 v[28:29], v[98:99], v[130:131]
	v_fma_f64 v[38:39], v[96:97], v[132:133], -v[28:29]
	s_waitcnt lgkmcnt(4)
	v_mul_f64 v[28:29], v[94:95], v[136:137]
	v_add_f64 v[30:31], v[30:31], v[38:39]
	v_fma_f64 v[50:51], v[92:93], v[134:135], v[28:29]
	v_mul_f64 v[28:29], v[94:95], v[134:135]
	v_fma_f64 v[46:47], v[92:93], v[136:137], -v[28:29]
	s_waitcnt lgkmcnt(3)
	v_mul_f64 v[28:29], v[126:127], v[140:141]
	v_add_f64 v[30:31], v[30:31], v[46:47]
	v_fma_f64 v[58:59], v[124:125], v[138:139], v[28:29]
	v_mul_f64 v[28:29], v[126:127], v[138:139]
	v_fma_f64 v[54:55], v[124:125], v[140:141], -v[28:29]
	s_waitcnt lgkmcnt(2)
	v_mul_f64 v[28:29], v[122:123], v[144:145]
	v_add_f64 v[30:31], v[30:31], v[54:55]
	v_fma_f64 v[66:67], v[120:121], v[142:143], v[28:29]
	v_mul_f64 v[28:29], v[122:123], v[142:143]
	v_fma_f64 v[62:63], v[120:121], v[144:145], -v[28:29]
	s_waitcnt lgkmcnt(1)
	v_mul_f64 v[28:29], v[114:115], v[148:149]
	v_add_f64 v[30:31], v[30:31], v[62:63]
	v_fma_f64 v[74:75], v[112:113], v[146:147], v[28:29]
	v_mul_f64 v[28:29], v[114:115], v[146:147]
	v_fma_f64 v[72:73], v[112:113], v[148:149], -v[28:29]
	s_waitcnt lgkmcnt(0)
	v_mul_f64 v[28:29], v[106:107], v[152:153]
	v_add_f64 v[30:31], v[30:31], v[72:73]
	v_fma_f64 v[76:77], v[104:105], v[150:151], v[28:29]
	v_mul_f64 v[28:29], v[106:107], v[150:151]
	v_add_f64 v[80:81], v[154:155], v[76:77]
	v_fma_f64 v[78:79], v[104:105], v[152:153], -v[28:29]
	v_add_f64 v[28:29], v[32:33], v[154:155]
	v_add_f64 v[30:31], v[30:31], v[78:79]
	;; [unrolled: 1-line block ×4, first 2 shown]
	v_add_f64 v[78:79], v[108:109], -v[78:79]
	v_add_f64 v[28:29], v[28:29], v[64:65]
	v_mul_f64 v[88:89], v[82:83], s[22:23]
	v_mul_f64 v[84:85], v[78:79], s[26:27]
	;; [unrolled: 1-line block ×12, first 2 shown]
	v_add_f64 v[28:29], v[28:29], v[56:57]
	v_fma_f64 v[86:87], v[80:81], s[22:23], v[84:85]
	v_fma_f64 v[84:85], v[80:81], s[22:23], -v[84:85]
	v_fma_f64 v[94:95], v[80:81], s[12:13], v[92:93]
	v_fma_f64 v[92:93], v[80:81], s[12:13], -v[92:93]
	v_fma_f64 v[102:103], v[80:81], s[4:5], v[100:101]
	v_fma_f64 v[100:101], v[80:81], s[4:5], -v[100:101]
	v_fma_f64 v[110:111], v[80:81], s[16:17], v[108:109]
	v_fma_f64 v[108:109], v[80:81], s[16:17], -v[108:109]
	v_fma_f64 v[118:119], v[80:81], s[30:31], v[116:117]
	v_fma_f64 v[116:117], v[80:81], s[30:31], -v[116:117]
	v_fma_f64 v[124:125], v[80:81], s[38:39], v[78:79]
	v_fma_f64 v[78:79], v[80:81], s[38:39], -v[78:79]
	v_add_f64 v[28:29], v[28:29], v[48:49]
	v_add_f64 v[86:87], v[32:33], v[86:87]
	;; [unrolled: 1-line block ×14, first 2 shown]
	v_add_f64 v[68:69], v[68:69], -v[72:73]
	v_add_f64 v[28:29], v[28:29], v[40:41]
	v_mul_f64 v[80:81], v[78:79], s[12:13]
	v_mul_f64 v[72:73], v[68:69], s[18:19]
	v_add_f64 v[28:29], v[28:29], v[42:43]
	v_add_f64 v[28:29], v[28:29], v[50:51]
	;; [unrolled: 1-line block ×6, first 2 shown]
	v_add_f64 v[76:77], v[154:155], -v[76:77]
	v_fma_f64 v[90:91], v[76:77], s[24:25], v[88:89]
	v_fma_f64 v[88:89], v[76:77], s[26:27], v[88:89]
	;; [unrolled: 1-line block ×12, first 2 shown]
	v_add_f64 v[90:91], v[34:35], v[90:91]
	v_add_f64 v[88:89], v[34:35], v[88:89]
	;; [unrolled: 1-line block ×13, first 2 shown]
	v_add_f64 v[70:71], v[70:71], -v[74:75]
	v_fma_f64 v[74:75], v[76:77], s[12:13], v[72:73]
	v_fma_f64 v[72:73], v[76:77], s[12:13], -v[72:73]
	v_fma_f64 v[82:83], v[70:71], s[14:15], v[80:81]
	v_fma_f64 v[80:81], v[70:71], s[18:19], v[80:81]
	v_add_f64 v[74:75], v[74:75], v[86:87]
	v_add_f64 v[72:73], v[72:73], v[84:85]
	v_mul_f64 v[84:85], v[68:69], s[10:11]
	v_add_f64 v[80:81], v[80:81], v[88:89]
	v_mul_f64 v[88:89], v[78:79], s[16:17]
	v_add_f64 v[82:83], v[82:83], v[90:91]
	v_fma_f64 v[86:87], v[76:77], s[16:17], v[84:85]
	v_fma_f64 v[84:85], v[76:77], s[16:17], -v[84:85]
	v_fma_f64 v[90:91], v[70:71], s[20:21], v[88:89]
	v_fma_f64 v[88:89], v[70:71], s[10:11], v[88:89]
	v_add_f64 v[86:87], v[86:87], v[94:95]
	v_add_f64 v[84:85], v[84:85], v[92:93]
	v_mul_f64 v[92:93], v[68:69], s[36:37]
	v_add_f64 v[88:89], v[88:89], v[96:97]
	v_mul_f64 v[96:97], v[78:79], s[38:39]
	v_add_f64 v[90:91], v[90:91], v[98:99]
	;; [unrolled: 10-line block ×3, first 2 shown]
	v_fma_f64 v[102:103], v[76:77], s[30:31], v[100:101]
	v_fma_f64 v[100:101], v[76:77], s[30:31], -v[100:101]
	v_fma_f64 v[106:107], v[70:71], s[28:29], v[104:105]
	v_fma_f64 v[104:105], v[70:71], s[34:35], v[104:105]
	v_add_f64 v[102:103], v[102:103], v[110:111]
	v_add_f64 v[100:101], v[100:101], v[108:109]
	v_mul_f64 v[108:109], v[68:69], s[0:1]
	v_mul_f64 v[68:69], v[68:69], s[24:25]
	v_add_f64 v[104:105], v[104:105], v[112:113]
	v_mul_f64 v[112:113], v[78:79], s[4:5]
	v_mul_f64 v[78:79], v[78:79], s[22:23]
	v_add_f64 v[106:107], v[106:107], v[114:115]
	v_fma_f64 v[110:111], v[76:77], s[4:5], v[108:109]
	v_fma_f64 v[108:109], v[76:77], s[4:5], -v[108:109]
	v_fma_f64 v[114:115], v[70:71], s[6:7], v[112:113]
	v_fma_f64 v[112:113], v[70:71], s[0:1], v[112:113]
	v_add_f64 v[110:111], v[110:111], v[118:119]
	v_add_f64 v[108:109], v[108:109], v[116:117]
	v_fma_f64 v[116:117], v[76:77], s[22:23], v[68:69]
	v_fma_f64 v[68:69], v[76:77], s[22:23], -v[68:69]
	v_fma_f64 v[118:119], v[70:71], s[26:27], v[78:79]
	v_add_f64 v[112:113], v[112:113], v[120:121]
	v_add_f64 v[114:115], v[114:115], v[122:123]
	;; [unrolled: 1-line block ×4, first 2 shown]
	v_fma_f64 v[68:69], v[70:71], s[24:25], v[78:79]
	v_add_f64 v[70:71], v[60:61], v[62:63]
	v_add_f64 v[60:61], v[60:61], -v[62:63]
	v_add_f64 v[118:119], v[118:119], v[126:127]
	v_add_f64 v[34:35], v[68:69], v[34:35]
	;; [unrolled: 1-line block ×3, first 2 shown]
	v_mul_f64 v[62:63], v[60:61], s[6:7]
	v_add_f64 v[64:65], v[64:65], -v[66:67]
	v_fma_f64 v[66:67], v[68:69], s[4:5], v[62:63]
	v_fma_f64 v[62:63], v[68:69], s[4:5], -v[62:63]
	v_add_f64 v[66:67], v[66:67], v[74:75]
	v_mul_f64 v[74:75], v[70:71], s[4:5]
	v_add_f64 v[62:63], v[62:63], v[72:73]
	v_fma_f64 v[76:77], v[64:65], s[0:1], v[74:75]
	v_fma_f64 v[72:73], v[64:65], s[6:7], v[74:75]
	v_mul_f64 v[74:75], v[60:61], s[36:37]
	v_add_f64 v[76:77], v[76:77], v[82:83]
	v_add_f64 v[72:73], v[72:73], v[80:81]
	v_fma_f64 v[78:79], v[68:69], s[38:39], v[74:75]
	v_fma_f64 v[74:75], v[68:69], s[38:39], -v[74:75]
	v_mul_f64 v[80:81], v[70:71], s[38:39]
	v_add_f64 v[78:79], v[78:79], v[86:87]
	v_add_f64 v[74:75], v[74:75], v[84:85]
	v_mul_f64 v[84:85], v[60:61], s[20:21]
	v_fma_f64 v[82:83], v[64:65], s[40:41], v[80:81]
	v_fma_f64 v[80:81], v[64:65], s[36:37], v[80:81]
	;; [unrolled: 1-line block ×3, first 2 shown]
	v_fma_f64 v[84:85], v[68:69], s[16:17], -v[84:85]
	v_add_f64 v[80:81], v[80:81], v[88:89]
	v_mul_f64 v[88:89], v[70:71], s[16:17]
	v_add_f64 v[82:83], v[82:83], v[90:91]
	v_add_f64 v[86:87], v[86:87], v[94:95]
	;; [unrolled: 1-line block ×3, first 2 shown]
	v_mul_f64 v[92:93], v[60:61], s[24:25]
	v_fma_f64 v[90:91], v[64:65], s[10:11], v[88:89]
	v_fma_f64 v[88:89], v[64:65], s[20:21], v[88:89]
	;; [unrolled: 1-line block ×3, first 2 shown]
	v_fma_f64 v[92:93], v[68:69], s[22:23], -v[92:93]
	v_add_f64 v[88:89], v[88:89], v[96:97]
	v_mul_f64 v[96:97], v[70:71], s[22:23]
	v_add_f64 v[90:91], v[90:91], v[98:99]
	v_add_f64 v[94:95], v[94:95], v[102:103]
	;; [unrolled: 1-line block ×3, first 2 shown]
	v_mul_f64 v[100:101], v[60:61], s[18:19]
	v_fma_f64 v[98:99], v[64:65], s[26:27], v[96:97]
	v_fma_f64 v[96:97], v[64:65], s[24:25], v[96:97]
	v_mul_f64 v[60:61], v[60:61], s[28:29]
	v_fma_f64 v[102:103], v[68:69], s[12:13], v[100:101]
	v_fma_f64 v[100:101], v[68:69], s[12:13], -v[100:101]
	v_add_f64 v[96:97], v[96:97], v[104:105]
	v_mul_f64 v[104:105], v[70:71], s[12:13]
	v_mul_f64 v[70:71], v[70:71], s[30:31]
	v_add_f64 v[98:99], v[98:99], v[106:107]
	v_add_f64 v[102:103], v[102:103], v[110:111]
	;; [unrolled: 1-line block ×3, first 2 shown]
	v_fma_f64 v[108:109], v[68:69], s[30:31], v[60:61]
	v_fma_f64 v[60:61], v[68:69], s[30:31], -v[60:61]
	v_fma_f64 v[106:107], v[64:65], s[14:15], v[104:105]
	v_fma_f64 v[104:105], v[64:65], s[18:19], v[104:105]
	;; [unrolled: 1-line block ×3, first 2 shown]
	v_add_f64 v[108:109], v[108:109], v[116:117]
	v_add_f64 v[32:33], v[60:61], v[32:33]
	v_fma_f64 v[60:61], v[64:65], s[28:29], v[70:71]
	v_add_f64 v[64:65], v[52:53], v[54:55]
	v_add_f64 v[52:53], v[52:53], -v[54:55]
	v_add_f64 v[104:105], v[104:105], v[112:113]
	v_add_f64 v[110:111], v[110:111], v[118:119]
	;; [unrolled: 1-line block ×5, first 2 shown]
	v_mul_f64 v[54:55], v[52:53], s[10:11]
	v_add_f64 v[56:57], v[56:57], -v[58:59]
	v_fma_f64 v[58:59], v[60:61], s[16:17], v[54:55]
	v_fma_f64 v[54:55], v[60:61], s[16:17], -v[54:55]
	v_add_f64 v[58:59], v[58:59], v[66:67]
	v_mul_f64 v[66:67], v[64:65], s[16:17]
	v_add_f64 v[54:55], v[54:55], v[62:63]
	v_fma_f64 v[68:69], v[56:57], s[20:21], v[66:67]
	v_fma_f64 v[62:63], v[56:57], s[10:11], v[66:67]
	v_mul_f64 v[66:67], v[52:53], s[34:35]
	v_add_f64 v[68:69], v[68:69], v[76:77]
	v_add_f64 v[62:63], v[62:63], v[72:73]
	v_fma_f64 v[70:71], v[60:61], s[30:31], v[66:67]
	v_fma_f64 v[66:67], v[60:61], s[30:31], -v[66:67]
	v_mul_f64 v[72:73], v[64:65], s[30:31]
	v_add_f64 v[70:71], v[70:71], v[78:79]
	v_add_f64 v[66:67], v[66:67], v[74:75]
	v_mul_f64 v[74:75], v[52:53], s[24:25]
	v_fma_f64 v[76:77], v[56:57], s[28:29], v[72:73]
	v_fma_f64 v[72:73], v[56:57], s[34:35], v[72:73]
	v_fma_f64 v[78:79], v[60:61], s[22:23], v[74:75]
	v_fma_f64 v[74:75], v[60:61], s[22:23], -v[74:75]
	v_add_f64 v[72:73], v[72:73], v[80:81]
	v_mul_f64 v[80:81], v[64:65], s[22:23]
	v_add_f64 v[76:77], v[76:77], v[82:83]
	v_add_f64 v[78:79], v[78:79], v[86:87]
	;; [unrolled: 1-line block ×3, first 2 shown]
	v_mul_f64 v[84:85], v[52:53], s[6:7]
	v_fma_f64 v[82:83], v[56:57], s[26:27], v[80:81]
	v_fma_f64 v[80:81], v[56:57], s[24:25], v[80:81]
	;; [unrolled: 1-line block ×3, first 2 shown]
	v_fma_f64 v[84:85], v[60:61], s[4:5], -v[84:85]
	v_add_f64 v[80:81], v[80:81], v[88:89]
	v_mul_f64 v[88:89], v[64:65], s[4:5]
	v_add_f64 v[82:83], v[82:83], v[90:91]
	v_add_f64 v[86:87], v[86:87], v[94:95]
	;; [unrolled: 1-line block ×3, first 2 shown]
	v_mul_f64 v[92:93], v[52:53], s[40:41]
	v_fma_f64 v[90:91], v[56:57], s[0:1], v[88:89]
	v_fma_f64 v[88:89], v[56:57], s[6:7], v[88:89]
	v_mul_f64 v[52:53], v[52:53], s[14:15]
	v_fma_f64 v[94:95], v[60:61], s[38:39], v[92:93]
	v_fma_f64 v[92:93], v[60:61], s[38:39], -v[92:93]
	v_add_f64 v[88:89], v[88:89], v[96:97]
	v_mul_f64 v[96:97], v[64:65], s[38:39]
	v_mul_f64 v[64:65], v[64:65], s[12:13]
	v_add_f64 v[90:91], v[90:91], v[98:99]
	v_add_f64 v[94:95], v[94:95], v[102:103]
	v_add_f64 v[92:93], v[92:93], v[100:101]
	v_fma_f64 v[100:101], v[60:61], s[12:13], v[52:53]
	v_fma_f64 v[52:53], v[60:61], s[12:13], -v[52:53]
	v_fma_f64 v[98:99], v[56:57], s[36:37], v[96:97]
	v_fma_f64 v[96:97], v[56:57], s[40:41], v[96:97]
	;; [unrolled: 1-line block ×3, first 2 shown]
	v_add_f64 v[60:61], v[36:37], v[38:39]
	v_add_f64 v[100:101], v[100:101], v[108:109]
	;; [unrolled: 1-line block ×3, first 2 shown]
	v_fma_f64 v[52:53], v[56:57], s[14:15], v[64:65]
	v_add_f64 v[56:57], v[44:45], v[46:47]
	v_add_f64 v[44:45], v[44:45], -v[46:47]
	v_add_f64 v[96:97], v[96:97], v[104:105]
	v_add_f64 v[102:103], v[102:103], v[110:111]
	;; [unrolled: 1-line block ×5, first 2 shown]
	v_mul_f64 v[46:47], v[44:45], s[28:29]
	v_add_f64 v[48:49], v[48:49], -v[50:51]
	v_fma_f64 v[50:51], v[52:53], s[30:31], v[46:47]
	v_fma_f64 v[46:47], v[52:53], s[30:31], -v[46:47]
	v_add_f64 v[104:105], v[50:51], v[58:59]
	v_mul_f64 v[50:51], v[56:57], s[30:31]
	v_add_f64 v[46:47], v[46:47], v[54:55]
	v_fma_f64 v[58:59], v[48:49], s[34:35], v[50:51]
	v_fma_f64 v[50:51], v[48:49], s[28:29], v[50:51]
	v_add_f64 v[106:107], v[58:59], v[68:69]
	v_add_f64 v[108:109], v[50:51], v[62:63]
	v_mul_f64 v[50:51], v[44:45], s[0:1]
	v_fma_f64 v[54:55], v[52:53], s[4:5], v[50:51]
	v_fma_f64 v[50:51], v[52:53], s[4:5], -v[50:51]
	v_add_f64 v[110:111], v[54:55], v[70:71]
	v_mul_f64 v[54:55], v[56:57], s[4:5]
	v_add_f64 v[114:115], v[50:51], v[66:67]
	v_fma_f64 v[50:51], v[48:49], s[0:1], v[54:55]
	v_fma_f64 v[58:59], v[48:49], s[6:7], v[54:55]
	v_add_f64 v[116:117], v[50:51], v[72:73]
	v_mul_f64 v[50:51], v[44:45], s[18:19]
	v_add_f64 v[112:113], v[58:59], v[76:77]
	v_fma_f64 v[54:55], v[52:53], s[12:13], v[50:51]
	v_fma_f64 v[50:51], v[52:53], s[12:13], -v[50:51]
	v_add_f64 v[118:119], v[54:55], v[78:79]
	v_mul_f64 v[54:55], v[56:57], s[12:13]
	v_add_f64 v[78:79], v[36:37], -v[38:39]
	v_fma_f64 v[58:59], v[48:49], s[14:15], v[54:55]
	v_add_f64 v[120:121], v[58:59], v[82:83]
	v_add_f64 v[82:83], v[50:51], v[74:75]
	v_fma_f64 v[50:51], v[48:49], s[18:19], v[54:55]
	v_add_f64 v[80:81], v[50:51], v[80:81]
	v_mul_f64 v[50:51], v[44:45], s[40:41]
	v_fma_f64 v[54:55], v[52:53], s[38:39], v[50:51]
	v_fma_f64 v[50:51], v[52:53], s[38:39], -v[50:51]
	v_add_f64 v[76:77], v[54:55], v[86:87]
	v_mul_f64 v[54:55], v[56:57], s[38:39]
	v_add_f64 v[72:73], v[50:51], v[84:85]
	v_fma_f64 v[50:51], v[48:49], s[40:41], v[54:55]
	v_fma_f64 v[58:59], v[48:49], s[36:37], v[54:55]
	v_add_f64 v[70:71], v[50:51], v[88:89]
	v_mul_f64 v[50:51], v[44:45], s[24:25]
	v_mul_f64 v[44:45], v[44:45], s[10:11]
	v_add_f64 v[74:75], v[58:59], v[90:91]
	v_mul_f64 v[88:89], v[78:79], s[28:29]
	v_mul_f64 v[90:91], v[60:61], s[30:31]
	v_fma_f64 v[54:55], v[52:53], s[22:23], v[50:51]
	v_fma_f64 v[50:51], v[52:53], s[22:23], -v[50:51]
	v_add_f64 v[68:69], v[54:55], v[94:95]
	v_mul_f64 v[54:55], v[56:57], s[22:23]
	v_add_f64 v[64:65], v[50:51], v[92:93]
	v_mul_f64 v[92:93], v[78:79], s[14:15]
	v_fma_f64 v[50:51], v[48:49], s[24:25], v[54:55]
	v_fma_f64 v[58:59], v[48:49], s[26:27], v[54:55]
	v_add_f64 v[62:63], v[50:51], v[96:97]
	v_fma_f64 v[50:51], v[52:53], s[16:17], v[44:45]
	v_add_f64 v[66:67], v[58:59], v[98:99]
	v_fma_f64 v[44:45], v[52:53], s[16:17], -v[44:45]
	v_add_f64 v[58:59], v[50:51], v[100:101]
	v_mul_f64 v[50:51], v[56:57], s[16:17]
	v_add_f64 v[52:53], v[44:45], v[32:33]
	v_fma_f64 v[54:55], v[48:49], s[20:21], v[50:51]
	v_fma_f64 v[32:33], v[48:49], s[10:11], v[50:51]
	v_add_f64 v[50:51], v[40:41], -v[42:43]
	v_add_f64 v[56:57], v[54:55], v[102:103]
	v_add_f64 v[54:55], v[40:41], v[42:43]
	v_fma_f64 v[86:87], v[50:51], s[34:35], v[90:91]
	v_add_f64 v[48:49], v[32:33], v[34:35]
	v_mul_f64 v[32:33], v[78:79], s[36:37]
	v_mul_f64 v[40:41], v[78:79], s[24:25]
	v_fma_f64 v[84:85], v[54:55], s[30:31], v[88:89]
	v_fma_f64 v[88:89], v[54:55], s[30:31], -v[88:89]
	v_add_f64 v[86:87], v[86:87], v[120:121]
	v_fma_f64 v[34:35], v[54:55], s[38:39], v[32:33]
	v_fma_f64 v[42:43], v[54:55], s[22:23], v[40:41]
	v_fma_f64 v[32:33], v[54:55], s[38:39], -v[32:33]
	v_fma_f64 v[40:41], v[54:55], s[22:23], -v[40:41]
	v_add_f64 v[84:85], v[84:85], v[118:119]
	v_add_f64 v[88:89], v[88:89], v[82:83]
	v_fma_f64 v[82:83], v[50:51], s[28:29], v[90:91]
	v_add_f64 v[36:37], v[34:35], v[104:105]
	v_mul_f64 v[34:35], v[60:61], s[38:39]
	v_add_f64 v[44:45], v[42:43], v[110:111]
	v_mul_f64 v[42:43], v[60:61], s[22:23]
	v_add_f64 v[32:33], v[32:33], v[46:47]
	v_add_f64 v[40:41], v[40:41], v[114:115]
	;; [unrolled: 1-line block ×3, first 2 shown]
	v_fma_f64 v[80:81], v[54:55], s[12:13], v[92:93]
	v_fma_f64 v[38:39], v[50:51], s[40:41], v[34:35]
	;; [unrolled: 1-line block ×5, first 2 shown]
	v_add_f64 v[80:81], v[80:81], v[76:77]
	v_mul_f64 v[76:77], v[60:61], s[12:13]
	v_add_f64 v[38:39], v[38:39], v[106:107]
	v_add_f64 v[46:47], v[46:47], v[112:113]
	;; [unrolled: 1-line block ×4, first 2 shown]
	v_fma_f64 v[82:83], v[50:51], s[18:19], v[76:77]
	v_add_f64 v[82:83], v[82:83], v[74:75]
	v_fma_f64 v[74:75], v[54:55], s[12:13], -v[92:93]
	v_mul_f64 v[92:93], v[60:61], s[16:17]
	v_add_f64 v[72:73], v[74:75], v[72:73]
	v_fma_f64 v[74:75], v[50:51], s[14:15], v[76:77]
	v_mul_f64 v[76:77], v[78:79], s[10:11]
	v_add_f64 v[74:75], v[74:75], v[70:71]
	v_fma_f64 v[70:71], v[54:55], s[16:17], v[76:77]
	v_add_f64 v[68:69], v[70:71], v[68:69]
	v_fma_f64 v[70:71], v[50:51], s[20:21], v[92:93]
	v_add_f64 v[70:71], v[70:71], v[66:67]
	v_fma_f64 v[66:67], v[54:55], s[16:17], -v[76:77]
	v_add_f64 v[64:65], v[66:67], v[64:65]
	v_fma_f64 v[66:67], v[50:51], s[10:11], v[92:93]
	v_add_f64 v[66:67], v[66:67], v[62:63]
	v_mul_f64 v[62:63], v[78:79], s[0:1]
	v_fma_f64 v[76:77], v[54:55], s[4:5], v[62:63]
	v_fma_f64 v[54:55], v[54:55], s[4:5], -v[62:63]
	v_add_f64 v[58:59], v[76:77], v[58:59]
	v_mul_f64 v[76:77], v[60:61], s[4:5]
	v_add_f64 v[52:53], v[54:55], v[52:53]
	s_mov_b32 s4, 0x43156c6a
	s_mov_b32 s5, 0x3f4bb2f6
	v_fma_f64 v[60:61], v[50:51], s[6:7], v[76:77]
	v_fma_f64 v[50:51], v[50:51], s[0:1], v[76:77]
	s_mul_hi_u32 s1, s8, 0xa9
	v_add_f64 v[60:61], v[60:61], v[56:57]
	v_add_f64 v[54:55], v[50:51], v[48:49]
	ds_write_b128 v199, v[28:31]
	ds_write_b128 v199, v[36:39] offset:1456
	ds_write_b128 v199, v[44:47] offset:2912
	;; [unrolled: 1-line block ×12, first 2 shown]
	s_waitcnt lgkmcnt(0)
	s_barrier
	buffer_gl0_inv
	ds_read_b128 v[28:31], v199
	s_waitcnt lgkmcnt(0)
	v_mul_f64 v[32:33], v[18:19], v[30:31]
	v_mul_f64 v[18:19], v[18:19], v[28:29]
	v_fma_f64 v[32:33], v[16:17], v[28:29], v[32:33]
	v_fma_f64 v[16:17], v[16:17], v[30:31], -v[18:19]
	v_mul_f64 v[32:33], v[32:33], s[4:5]
	v_mul_f64 v[34:35], v[16:17], s[4:5]
	v_mad_u64_u32 v[16:17], null, s8, v200, 0
	v_mad_u64_u32 v[17:18], null, s9, v200, v[17:18]
	v_lshlrev_b64 v[18:19], 4, v[128:129]
	v_lshlrev_b64 v[16:17], 4, v[16:17]
	v_add_co_u32 v18, s0, s2, v18
	v_add_co_ci_u32_e64 v19, s0, s3, v19, s0
	v_add_co_u32 v36, s0, v18, v16
	v_add_co_ci_u32_e64 v37, s0, v19, v17, s0
	ds_read_b128 v[16:19], v199 offset:2704
	s_mul_i32 s0, s9, 0xa9
	s_add_i32 s1, s1, s0
	s_mul_i32 s0, s8, 0xa9
	global_store_dwordx4 v[36:37], v[32:35], off
	s_lshl_b64 s[2:3], s[0:1], 4
	v_add_co_u32 v32, s0, v36, s2
	v_add_co_ci_u32_e64 v33, s0, s3, v37, s0
	s_waitcnt lgkmcnt(0)
	v_mul_f64 v[28:29], v[26:27], v[18:19]
	v_fma_f64 v[28:29], v[24:25], v[16:17], v[28:29]
	v_mul_f64 v[16:17], v[26:27], v[16:17]
	v_mul_f64 v[28:29], v[28:29], s[4:5]
	v_fma_f64 v[16:17], v[24:25], v[18:19], -v[16:17]
	v_mul_f64 v[30:31], v[16:17], s[4:5]
	ds_read_b128 v[16:19], v199 offset:5408
	s_waitcnt lgkmcnt(0)
	v_mul_f64 v[24:25], v[22:23], v[18:19]
	global_store_dwordx4 v[32:33], v[28:31], off
	v_add_co_u32 v28, s0, v32, s2
	v_add_co_ci_u32_e64 v29, s0, s3, v33, s0
	v_fma_f64 v[24:25], v[20:21], v[16:17], v[24:25]
	v_mul_f64 v[16:17], v[22:23], v[16:17]
	v_mul_f64 v[24:25], v[24:25], s[4:5]
	v_fma_f64 v[16:17], v[20:21], v[18:19], -v[16:17]
	v_mul_f64 v[26:27], v[16:17], s[4:5]
	ds_read_b128 v[16:19], v199 offset:8112
	s_waitcnt lgkmcnt(0)
	v_mul_f64 v[20:21], v[14:15], v[18:19]
	v_mul_f64 v[14:15], v[14:15], v[16:17]
	global_store_dwordx4 v[28:29], v[24:27], off
	v_add_co_u32 v24, s0, v28, s2
	v_add_co_ci_u32_e64 v25, s0, s3, v29, s0
	v_fma_f64 v[20:21], v[12:13], v[16:17], v[20:21]
	v_fma_f64 v[12:13], v[12:13], v[18:19], -v[14:15]
	v_mul_f64 v[20:21], v[20:21], s[4:5]
	v_mul_f64 v[22:23], v[12:13], s[4:5]
	ds_read_b128 v[12:15], v199 offset:10816
	s_waitcnt lgkmcnt(0)
	v_mul_f64 v[16:17], v[10:11], v[14:15]
	v_mul_f64 v[10:11], v[10:11], v[12:13]
	global_store_dwordx4 v[24:25], v[20:23], off
	v_add_co_u32 v20, s0, v24, s2
	v_add_co_ci_u32_e64 v21, s0, s3, v25, s0
	v_fma_f64 v[16:17], v[8:9], v[12:13], v[16:17]
	v_fma_f64 v[8:9], v[8:9], v[14:15], -v[10:11]
	v_mul_f64 v[16:17], v[16:17], s[4:5]
	;; [unrolled: 11-line block ×3, first 2 shown]
	v_mul_f64 v[14:15], v[4:5], s[4:5]
	ds_read_b128 v[4:7], v199 offset:16224
	s_waitcnt lgkmcnt(0)
	v_mul_f64 v[8:9], v[2:3], v[6:7]
	v_mul_f64 v[2:3], v[2:3], v[4:5]
	global_store_dwordx4 v[16:17], v[12:15], off
	v_fma_f64 v[8:9], v[0:1], v[4:5], v[8:9]
	v_fma_f64 v[0:1], v[0:1], v[6:7], -v[2:3]
	v_mul_f64 v[8:9], v[8:9], s[4:5]
	v_mul_f64 v[10:11], v[0:1], s[4:5]
	v_add_co_u32 v0, s0, v16, s2
	v_add_co_ci_u32_e64 v1, s0, s3, v17, s0
	global_store_dwordx4 v[0:1], v[8:11], off
	s_and_b32 exec_lo, exec_lo, vcc_lo
	s_cbranch_execz .LBB0_15
; %bb.14:
	v_add_co_u32 v14, vcc_lo, 0x2000, v180
	global_load_dwordx4 v[2:5], v[180:181], off offset:1456
	v_add_co_ci_u32_e32 v15, vcc_lo, 0, v181, vcc_lo
	s_clause 0x3
	global_load_dwordx4 v[6:9], v[182:183], off offset:64
	global_load_dwordx4 v[10:13], v[188:189], off offset:720
	;; [unrolled: 1-line block ×4, first 2 shown]
	ds_read_b128 v[22:25], v199 offset:1456
	ds_read_b128 v[26:29], v199 offset:4160
	;; [unrolled: 1-line block ×6, first 2 shown]
	s_mul_i32 s0, s9, 0xffffc650
	s_sub_i32 s0, s0, s8
	s_waitcnt vmcnt(4) lgkmcnt(5)
	v_mul_f64 v[46:47], v[24:25], v[4:5]
	v_mul_f64 v[4:5], v[22:23], v[4:5]
	s_waitcnt vmcnt(3) lgkmcnt(4)
	v_mul_f64 v[48:49], v[28:29], v[8:9]
	v_mul_f64 v[8:9], v[26:27], v[8:9]
	;; [unrolled: 3-line block ×5, first 2 shown]
	v_fma_f64 v[22:23], v[22:23], v[2:3], v[46:47]
	v_fma_f64 v[2:3], v[2:3], v[24:25], -v[4:5]
	v_fma_f64 v[4:5], v[26:27], v[6:7], v[48:49]
	v_fma_f64 v[6:7], v[6:7], v[28:29], -v[8:9]
	;; [unrolled: 2-line block ×5, first 2 shown]
	v_mad_u64_u32 v[20:21], null, 0xffffc650, s8, v[0:1]
	v_add_nc_u32_e32 v21, s0, v21
	v_mul_f64 v[0:1], v[22:23], s[4:5]
	v_mul_f64 v[2:3], v[2:3], s[4:5]
	;; [unrolled: 1-line block ×10, first 2 shown]
	v_add_co_u32 v22, vcc_lo, v20, s2
	v_add_co_ci_u32_e32 v23, vcc_lo, s3, v21, vcc_lo
	v_add_co_u32 v24, vcc_lo, v22, s2
	v_add_co_ci_u32_e32 v25, vcc_lo, s3, v23, vcc_lo
	;; [unrolled: 2-line block ×4, first 2 shown]
	global_store_dwordx4 v[20:21], v[0:3], off
	global_store_dwordx4 v[22:23], v[4:7], off
	;; [unrolled: 1-line block ×5, first 2 shown]
	global_load_dwordx4 v[0:3], v[184:185], off offset:640
	v_add_co_u32 v8, vcc_lo, v28, s2
	v_add_co_ci_u32_e32 v9, vcc_lo, s3, v29, vcc_lo
	s_waitcnt vmcnt(0) lgkmcnt(0)
	v_mul_f64 v[4:5], v[44:45], v[2:3]
	v_mul_f64 v[2:3], v[42:43], v[2:3]
	v_fma_f64 v[4:5], v[42:43], v[0:1], v[4:5]
	v_fma_f64 v[2:3], v[0:1], v[44:45], -v[2:3]
	v_mul_f64 v[0:1], v[4:5], s[4:5]
	v_mul_f64 v[2:3], v[2:3], s[4:5]
	v_add_co_u32 v4, vcc_lo, 0x4000, v180
	v_add_co_ci_u32_e32 v5, vcc_lo, 0, v181, vcc_lo
	global_store_dwordx4 v[8:9], v[0:3], off
	global_load_dwordx4 v[0:3], v[4:5], off offset:1296
	ds_read_b128 v[4:7], v199 offset:17680
	s_waitcnt vmcnt(0) lgkmcnt(0)
	v_mul_f64 v[10:11], v[6:7], v[2:3]
	v_mul_f64 v[2:3], v[4:5], v[2:3]
	v_fma_f64 v[4:5], v[4:5], v[0:1], v[10:11]
	v_fma_f64 v[2:3], v[0:1], v[6:7], -v[2:3]
	v_mul_f64 v[0:1], v[4:5], s[4:5]
	v_mul_f64 v[2:3], v[2:3], s[4:5]
	v_add_co_u32 v4, vcc_lo, v8, s2
	v_add_co_ci_u32_e32 v5, vcc_lo, s3, v9, vcc_lo
	global_store_dwordx4 v[4:5], v[0:3], off
.LBB0_15:
	s_endpgm
	.section	.rodata,"a",@progbits
	.p2align	6, 0x0
	.amdhsa_kernel bluestein_single_back_len1183_dim1_dp_op_CI_CI
		.amdhsa_group_segment_fixed_size 37856
		.amdhsa_private_segment_fixed_size 0
		.amdhsa_kernarg_size 104
		.amdhsa_user_sgpr_count 6
		.amdhsa_user_sgpr_private_segment_buffer 1
		.amdhsa_user_sgpr_dispatch_ptr 0
		.amdhsa_user_sgpr_queue_ptr 0
		.amdhsa_user_sgpr_kernarg_segment_ptr 1
		.amdhsa_user_sgpr_dispatch_id 0
		.amdhsa_user_sgpr_flat_scratch_init 0
		.amdhsa_user_sgpr_private_segment_size 0
		.amdhsa_wavefront_size32 1
		.amdhsa_uses_dynamic_stack 0
		.amdhsa_system_sgpr_private_segment_wavefront_offset 0
		.amdhsa_system_sgpr_workgroup_id_x 1
		.amdhsa_system_sgpr_workgroup_id_y 0
		.amdhsa_system_sgpr_workgroup_id_z 0
		.amdhsa_system_sgpr_workgroup_info 0
		.amdhsa_system_vgpr_workitem_id 0
		.amdhsa_next_free_vgpr 245
		.amdhsa_next_free_sgpr 46
		.amdhsa_reserve_vcc 1
		.amdhsa_reserve_flat_scratch 0
		.amdhsa_float_round_mode_32 0
		.amdhsa_float_round_mode_16_64 0
		.amdhsa_float_denorm_mode_32 3
		.amdhsa_float_denorm_mode_16_64 3
		.amdhsa_dx10_clamp 1
		.amdhsa_ieee_mode 1
		.amdhsa_fp16_overflow 0
		.amdhsa_workgroup_processor_mode 1
		.amdhsa_memory_ordered 1
		.amdhsa_forward_progress 0
		.amdhsa_shared_vgpr_count 0
		.amdhsa_exception_fp_ieee_invalid_op 0
		.amdhsa_exception_fp_denorm_src 0
		.amdhsa_exception_fp_ieee_div_zero 0
		.amdhsa_exception_fp_ieee_overflow 0
		.amdhsa_exception_fp_ieee_underflow 0
		.amdhsa_exception_fp_ieee_inexact 0
		.amdhsa_exception_int_div_zero 0
	.end_amdhsa_kernel
	.text
.Lfunc_end0:
	.size	bluestein_single_back_len1183_dim1_dp_op_CI_CI, .Lfunc_end0-bluestein_single_back_len1183_dim1_dp_op_CI_CI
                                        ; -- End function
	.section	.AMDGPU.csdata,"",@progbits
; Kernel info:
; codeLenInByte = 24120
; NumSgprs: 48
; NumVgprs: 245
; ScratchSize: 0
; MemoryBound: 0
; FloatMode: 240
; IeeeMode: 1
; LDSByteSize: 37856 bytes/workgroup (compile time only)
; SGPRBlocks: 5
; VGPRBlocks: 30
; NumSGPRsForWavesPerEU: 48
; NumVGPRsForWavesPerEU: 245
; Occupancy: 4
; WaveLimiterHint : 1
; COMPUTE_PGM_RSRC2:SCRATCH_EN: 0
; COMPUTE_PGM_RSRC2:USER_SGPR: 6
; COMPUTE_PGM_RSRC2:TRAP_HANDLER: 0
; COMPUTE_PGM_RSRC2:TGID_X_EN: 1
; COMPUTE_PGM_RSRC2:TGID_Y_EN: 0
; COMPUTE_PGM_RSRC2:TGID_Z_EN: 0
; COMPUTE_PGM_RSRC2:TIDIG_COMP_CNT: 0
	.text
	.p2alignl 6, 3214868480
	.fill 48, 4, 3214868480
	.type	__hip_cuid_b7b8b4fefeae2976,@object ; @__hip_cuid_b7b8b4fefeae2976
	.section	.bss,"aw",@nobits
	.globl	__hip_cuid_b7b8b4fefeae2976
__hip_cuid_b7b8b4fefeae2976:
	.byte	0                               ; 0x0
	.size	__hip_cuid_b7b8b4fefeae2976, 1

	.ident	"AMD clang version 19.0.0git (https://github.com/RadeonOpenCompute/llvm-project roc-6.4.0 25133 c7fe45cf4b819c5991fe208aaa96edf142730f1d)"
	.section	".note.GNU-stack","",@progbits
	.addrsig
	.addrsig_sym __hip_cuid_b7b8b4fefeae2976
	.amdgpu_metadata
---
amdhsa.kernels:
  - .args:
      - .actual_access:  read_only
        .address_space:  global
        .offset:         0
        .size:           8
        .value_kind:     global_buffer
      - .actual_access:  read_only
        .address_space:  global
        .offset:         8
        .size:           8
        .value_kind:     global_buffer
      - .actual_access:  read_only
        .address_space:  global
        .offset:         16
        .size:           8
        .value_kind:     global_buffer
      - .actual_access:  read_only
        .address_space:  global
        .offset:         24
        .size:           8
        .value_kind:     global_buffer
      - .actual_access:  read_only
        .address_space:  global
        .offset:         32
        .size:           8
        .value_kind:     global_buffer
      - .offset:         40
        .size:           8
        .value_kind:     by_value
      - .address_space:  global
        .offset:         48
        .size:           8
        .value_kind:     global_buffer
      - .address_space:  global
        .offset:         56
        .size:           8
        .value_kind:     global_buffer
      - .address_space:  global
        .offset:         64
        .size:           8
        .value_kind:     global_buffer
      - .address_space:  global
        .offset:         72
        .size:           8
        .value_kind:     global_buffer
      - .offset:         80
        .size:           4
        .value_kind:     by_value
      - .address_space:  global
        .offset:         88
        .size:           8
        .value_kind:     global_buffer
      - .address_space:  global
        .offset:         96
        .size:           8
        .value_kind:     global_buffer
    .group_segment_fixed_size: 37856
    .kernarg_segment_align: 8
    .kernarg_segment_size: 104
    .language:       OpenCL C
    .language_version:
      - 2
      - 0
    .max_flat_workgroup_size: 182
    .name:           bluestein_single_back_len1183_dim1_dp_op_CI_CI
    .private_segment_fixed_size: 0
    .sgpr_count:     48
    .sgpr_spill_count: 0
    .symbol:         bluestein_single_back_len1183_dim1_dp_op_CI_CI.kd
    .uniform_work_group_size: 1
    .uses_dynamic_stack: false
    .vgpr_count:     245
    .vgpr_spill_count: 0
    .wavefront_size: 32
    .workgroup_processor_mode: 1
amdhsa.target:   amdgcn-amd-amdhsa--gfx1030
amdhsa.version:
  - 1
  - 2
...

	.end_amdgpu_metadata
